;; amdgpu-corpus repo=ROCm/rocFFT kind=compiled arch=gfx950 opt=O3
	.text
	.amdgcn_target "amdgcn-amd-amdhsa--gfx950"
	.amdhsa_code_object_version 6
	.protected	fft_rtc_fwd_len3456_factors_6_6_6_4_4_wgs_144_tpt_144_halfLds_sp_op_CI_CI_unitstride_sbrr_dirReg ; -- Begin function fft_rtc_fwd_len3456_factors_6_6_6_4_4_wgs_144_tpt_144_halfLds_sp_op_CI_CI_unitstride_sbrr_dirReg
	.globl	fft_rtc_fwd_len3456_factors_6_6_6_4_4_wgs_144_tpt_144_halfLds_sp_op_CI_CI_unitstride_sbrr_dirReg
	.p2align	8
	.type	fft_rtc_fwd_len3456_factors_6_6_6_4_4_wgs_144_tpt_144_halfLds_sp_op_CI_CI_unitstride_sbrr_dirReg,@function
fft_rtc_fwd_len3456_factors_6_6_6_4_4_wgs_144_tpt_144_halfLds_sp_op_CI_CI_unitstride_sbrr_dirReg: ; @fft_rtc_fwd_len3456_factors_6_6_6_4_4_wgs_144_tpt_144_halfLds_sp_op_CI_CI_unitstride_sbrr_dirReg
; %bb.0:
	s_load_dwordx4 s[4:7], s[0:1], 0x58
	s_load_dwordx4 s[8:11], s[0:1], 0x0
	;; [unrolled: 1-line block ×3, first 2 shown]
	v_mul_u32_u24_e32 v1, 0x1c8, v0
	v_add_u32_sdwa v4, s2, v1 dst_sel:DWORD dst_unused:UNUSED_PAD src0_sel:DWORD src1_sel:WORD_1
	v_mov_b32_e32 v2, 0
	s_waitcnt lgkmcnt(0)
	v_cmp_lt_u64_e64 s[2:3], s[10:11], 2
	v_mov_b32_e32 v5, v2
	s_and_b64 vcc, exec, s[2:3]
	v_mov_b64_e32 v[50:51], 0
	s_cbranch_vccnz .LBB0_8
; %bb.1:
	s_load_dwordx2 s[2:3], s[0:1], 0x10
	s_add_u32 s16, s14, 8
	s_addc_u32 s17, s15, 0
	s_add_u32 s18, s12, 8
	s_addc_u32 s19, s13, 0
	s_waitcnt lgkmcnt(0)
	s_add_u32 s20, s2, 8
	v_mov_b64_e32 v[50:51], 0
	s_addc_u32 s21, s3, 0
	s_mov_b64 s[22:23], 1
	v_mov_b64_e32 v[12:13], v[50:51]
.LBB0_2:                                ; =>This Inner Loop Header: Depth=1
	s_load_dwordx2 s[24:25], s[20:21], 0x0
                                        ; implicit-def: $vgpr14_vgpr15
	s_waitcnt lgkmcnt(0)
	v_or_b32_e32 v3, s25, v5
	v_cmp_ne_u64_e32 vcc, 0, v[2:3]
	s_and_saveexec_b64 s[2:3], vcc
	s_xor_b64 s[26:27], exec, s[2:3]
	s_cbranch_execz .LBB0_4
; %bb.3:                                ;   in Loop: Header=BB0_2 Depth=1
	v_cvt_f32_u32_e32 v1, s24
	v_cvt_f32_u32_e32 v3, s25
	s_sub_u32 s2, 0, s24
	s_subb_u32 s3, 0, s25
	v_fmac_f32_e32 v1, 0x4f800000, v3
	v_rcp_f32_e32 v1, v1
	s_nop 0
	v_mul_f32_e32 v1, 0x5f7ffffc, v1
	v_mul_f32_e32 v3, 0x2f800000, v1
	v_trunc_f32_e32 v3, v3
	v_fmac_f32_e32 v1, 0xcf800000, v3
	v_cvt_u32_f32_e32 v3, v3
	v_cvt_u32_f32_e32 v1, v1
	v_mul_lo_u32 v6, s2, v3
	v_mul_hi_u32 v8, s2, v1
	v_mul_lo_u32 v7, s3, v1
	v_add_u32_e32 v8, v8, v6
	v_mul_lo_u32 v10, s2, v1
	v_add_u32_e32 v11, v8, v7
	v_mul_hi_u32 v6, v1, v10
	v_mul_hi_u32 v9, v1, v11
	v_mul_lo_u32 v8, v1, v11
	v_mov_b32_e32 v7, v2
	v_lshl_add_u64 v[6:7], v[6:7], 0, v[8:9]
	v_mul_hi_u32 v9, v3, v10
	v_mul_lo_u32 v10, v3, v10
	v_add_co_u32_e32 v6, vcc, v6, v10
	v_mul_hi_u32 v8, v3, v11
	s_nop 0
	v_addc_co_u32_e32 v6, vcc, v7, v9, vcc
	v_mov_b32_e32 v7, v2
	s_nop 0
	v_addc_co_u32_e32 v9, vcc, 0, v8, vcc
	v_mul_lo_u32 v8, v3, v11
	v_lshl_add_u64 v[6:7], v[6:7], 0, v[8:9]
	v_add_co_u32_e32 v1, vcc, v1, v6
	v_mul_lo_u32 v8, s2, v1
	s_nop 0
	v_addc_co_u32_e32 v3, vcc, v3, v7, vcc
	v_mul_lo_u32 v6, s2, v3
	v_mul_hi_u32 v7, s2, v1
	v_add_u32_e32 v6, v7, v6
	v_mul_lo_u32 v7, s3, v1
	v_add_u32_e32 v10, v6, v7
	v_mul_hi_u32 v14, v3, v8
	v_mul_lo_u32 v15, v3, v8
	v_mul_hi_u32 v7, v1, v10
	v_mul_lo_u32 v6, v1, v10
	v_mul_hi_u32 v8, v1, v8
	v_mov_b32_e32 v9, v2
	v_lshl_add_u64 v[6:7], v[8:9], 0, v[6:7]
	v_add_co_u32_e32 v6, vcc, v6, v15
	v_mul_hi_u32 v11, v3, v10
	s_nop 0
	v_addc_co_u32_e32 v6, vcc, v7, v14, vcc
	v_mul_lo_u32 v8, v3, v10
	s_nop 0
	v_addc_co_u32_e32 v9, vcc, 0, v11, vcc
	v_mov_b32_e32 v7, v2
	v_lshl_add_u64 v[6:7], v[6:7], 0, v[8:9]
	v_add_co_u32_e32 v1, vcc, v1, v6
	v_mul_hi_u32 v8, v4, v1
	s_nop 0
	v_addc_co_u32_e32 v3, vcc, v3, v7, vcc
	v_mad_u64_u32 v[6:7], s[2:3], v4, v3, 0
	v_mov_b32_e32 v9, v2
	v_lshl_add_u64 v[6:7], v[8:9], 0, v[6:7]
	v_mad_u64_u32 v[10:11], s[2:3], v5, v1, 0
	v_add_co_u32_e32 v1, vcc, v6, v10
	v_mad_u64_u32 v[8:9], s[2:3], v5, v3, 0
	s_nop 0
	v_addc_co_u32_e32 v6, vcc, v7, v11, vcc
	v_mov_b32_e32 v7, v2
	s_nop 0
	v_addc_co_u32_e32 v9, vcc, 0, v9, vcc
	v_lshl_add_u64 v[6:7], v[6:7], 0, v[8:9]
	v_mul_lo_u32 v1, s25, v6
	v_mul_lo_u32 v3, s24, v7
	v_mad_u64_u32 v[8:9], s[2:3], s24, v6, 0
	v_add3_u32 v1, v9, v3, v1
	v_sub_u32_e32 v3, v5, v1
	v_mov_b32_e32 v9, s25
	v_sub_co_u32_e32 v14, vcc, v4, v8
	v_lshl_add_u64 v[10:11], v[6:7], 0, 1
	s_nop 0
	v_subb_co_u32_e64 v3, s[2:3], v3, v9, vcc
	v_subrev_co_u32_e64 v8, s[2:3], s24, v14
	v_subb_co_u32_e32 v1, vcc, v5, v1, vcc
	s_nop 0
	v_subbrev_co_u32_e64 v3, s[2:3], 0, v3, s[2:3]
	v_cmp_le_u32_e64 s[2:3], s25, v3
	v_cmp_le_u32_e32 vcc, s25, v1
	s_nop 0
	v_cndmask_b32_e64 v9, 0, -1, s[2:3]
	v_cmp_le_u32_e64 s[2:3], s24, v8
	s_nop 1
	v_cndmask_b32_e64 v8, 0, -1, s[2:3]
	v_cmp_eq_u32_e64 s[2:3], s25, v3
	s_nop 1
	v_cndmask_b32_e64 v3, v9, v8, s[2:3]
	v_lshl_add_u64 v[8:9], v[6:7], 0, 2
	v_cmp_ne_u32_e64 s[2:3], 0, v3
	s_nop 1
	v_cndmask_b32_e64 v3, v11, v9, s[2:3]
	v_cndmask_b32_e64 v9, 0, -1, vcc
	v_cmp_le_u32_e32 vcc, s24, v14
	s_nop 1
	v_cndmask_b32_e64 v11, 0, -1, vcc
	v_cmp_eq_u32_e32 vcc, s25, v1
	s_nop 1
	v_cndmask_b32_e32 v1, v9, v11, vcc
	v_cmp_ne_u32_e32 vcc, 0, v1
	v_cndmask_b32_e64 v1, v10, v8, s[2:3]
	s_nop 0
	v_cndmask_b32_e32 v15, v7, v3, vcc
	v_cndmask_b32_e32 v14, v6, v1, vcc
.LBB0_4:                                ;   in Loop: Header=BB0_2 Depth=1
	s_andn2_saveexec_b64 s[2:3], s[26:27]
	s_cbranch_execz .LBB0_6
; %bb.5:                                ;   in Loop: Header=BB0_2 Depth=1
	v_cvt_f32_u32_e32 v1, s24
	s_sub_i32 s26, 0, s24
	v_mov_b32_e32 v15, v2
	v_rcp_iflag_f32_e32 v1, v1
	s_nop 0
	v_mul_f32_e32 v1, 0x4f7ffffe, v1
	v_cvt_u32_f32_e32 v1, v1
	v_mul_lo_u32 v3, s26, v1
	v_mul_hi_u32 v3, v1, v3
	v_add_u32_e32 v1, v1, v3
	v_mul_hi_u32 v1, v4, v1
	v_mul_lo_u32 v3, v1, s24
	v_sub_u32_e32 v3, v4, v3
	v_add_u32_e32 v6, 1, v1
	v_subrev_u32_e32 v7, s24, v3
	v_cmp_le_u32_e32 vcc, s24, v3
	s_nop 1
	v_cndmask_b32_e32 v3, v3, v7, vcc
	v_cndmask_b32_e32 v1, v1, v6, vcc
	v_add_u32_e32 v6, 1, v1
	v_cmp_le_u32_e32 vcc, s24, v3
	s_nop 1
	v_cndmask_b32_e32 v14, v1, v6, vcc
.LBB0_6:                                ;   in Loop: Header=BB0_2 Depth=1
	s_or_b64 exec, exec, s[2:3]
	v_mad_u64_u32 v[6:7], s[2:3], v14, s24, 0
	s_load_dwordx2 s[2:3], s[18:19], 0x0
	v_mul_lo_u32 v1, v15, s24
	v_mul_lo_u32 v3, v14, s25
	s_load_dwordx2 s[24:25], s[16:17], 0x0
	s_add_u32 s22, s22, 1
	v_add3_u32 v1, v7, v3, v1
	v_sub_co_u32_e32 v3, vcc, v4, v6
	s_addc_u32 s23, s23, 0
	s_nop 0
	v_subb_co_u32_e32 v1, vcc, v5, v1, vcc
	s_add_u32 s16, s16, 8
	s_waitcnt lgkmcnt(0)
	v_mul_lo_u32 v4, s2, v1
	v_mul_lo_u32 v5, s3, v3
	v_mad_u64_u32 v[50:51], s[2:3], s2, v3, v[50:51]
	s_addc_u32 s17, s17, 0
	v_add3_u32 v51, v5, v51, v4
	v_mul_lo_u32 v1, s24, v1
	v_mul_lo_u32 v4, s25, v3
	v_mad_u64_u32 v[12:13], s[2:3], s24, v3, v[12:13]
	s_add_u32 s18, s18, 8
	v_add3_u32 v13, v4, v13, v1
	s_addc_u32 s19, s19, 0
	v_mov_b64_e32 v[4:5], s[10:11]
	s_add_u32 s20, s20, 8
	v_cmp_ge_u64_e32 vcc, s[22:23], v[4:5]
	s_addc_u32 s21, s21, 0
	s_cbranch_vccnz .LBB0_9
; %bb.7:                                ;   in Loop: Header=BB0_2 Depth=1
	v_mov_b64_e32 v[4:5], v[14:15]
	s_branch .LBB0_2
.LBB0_8:
	v_mov_b64_e32 v[12:13], v[50:51]
	v_mov_b64_e32 v[14:15], v[4:5]
.LBB0_9:
	s_load_dwordx2 s[0:1], s[0:1], 0x28
	s_lshl_b64 s[16:17], s[10:11], 3
	s_add_u32 s2, s14, s16
	s_addc_u32 s3, s15, s17
                                        ; implicit-def: $vgpr68
	s_waitcnt lgkmcnt(0)
	v_cmp_gt_u64_e32 vcc, s[0:1], v[14:15]
	v_cmp_le_u64_e64 s[0:1], s[0:1], v[14:15]
	s_and_saveexec_b64 s[10:11], s[0:1]
	s_xor_b64 s[0:1], exec, s[10:11]
; %bb.10:
	s_mov_b32 s10, 0x1c71c72
	v_mul_hi_u32 v1, v0, s10
	v_mul_u32_u24_e32 v1, 0x90, v1
	v_sub_u32_e32 v68, v0, v1
                                        ; implicit-def: $vgpr0
                                        ; implicit-def: $vgpr50_vgpr51
; %bb.11:
	s_or_saveexec_b64 s[10:11], s[0:1]
                                        ; implicit-def: $vgpr54
                                        ; implicit-def: $vgpr60
                                        ; implicit-def: $vgpr52
                                        ; implicit-def: $vgpr48
                                        ; implicit-def: $vgpr44
                                        ; implicit-def: $vgpr38
                                        ; implicit-def: $vgpr36
                                        ; implicit-def: $vgpr26
                                        ; implicit-def: $vgpr34
                                        ; implicit-def: $vgpr20
                                        ; implicit-def: $vgpr22
                                        ; implicit-def: $vgpr8
                                        ; implicit-def: $vgpr64
                                        ; implicit-def: $vgpr24
                                        ; implicit-def: $vgpr58
                                        ; implicit-def: $vgpr62
                                        ; implicit-def: $vgpr42
                                        ; implicit-def: $vgpr6
                                        ; implicit-def: $vgpr40
                                        ; implicit-def: $vgpr46
                                        ; implicit-def: $vgpr32
                                        ; implicit-def: $vgpr4
                                        ; implicit-def: $vgpr30
                                        ; implicit-def: $vgpr28
                                        ; implicit-def: $vgpr16
                                        ; implicit-def: $vgpr2
                                        ; implicit-def: $vgpr18
                                        ; implicit-def: $vgpr10
	s_xor_b64 exec, exec, s[10:11]
	s_cbranch_execz .LBB0_13
; %bb.12:
	s_add_u32 s0, s12, s16
	s_addc_u32 s1, s13, s17
	s_load_dwordx2 s[0:1], s[0:1], 0x0
	s_mov_b32 s12, 0x1c71c72
	s_waitcnt lgkmcnt(0)
	v_mul_lo_u32 v1, s1, v14
	v_mul_lo_u32 v4, s0, v15
	v_mad_u64_u32 v[2:3], s[0:1], s0, v14, 0
	v_add3_u32 v3, v3, v4, v1
	v_mul_hi_u32 v1, v0, s12
	v_mul_u32_u24_e32 v1, 0x90, v1
	v_sub_u32_e32 v68, v0, v1
	v_lshl_add_u64 v[0:1], v[2:3], 3, s[4:5]
	v_lshl_add_u64 v[0:1], v[50:51], 3, v[0:1]
	v_lshlrev_b32_e32 v2, 3, v68
	v_mov_b32_e32 v3, 0
	v_lshl_add_u64 v[4:5], v[0:1], 0, v[2:3]
	s_movk_i32 s0, 0x2000
	v_add_co_u32_e64 v6, s[0:1], s0, v4
	v_or_b32_e32 v2, 0x4800, v2
	s_nop 0
	v_addc_co_u32_e64 v7, s[0:1], 0, v5, s[0:1]
	s_movk_i32 s0, 0x1000
	v_lshl_add_u64 v[0:1], v[0:1], 0, v[2:3]
	v_add_co_u32_e64 v2, s[0:1], s0, v4
	global_load_dwordx2 v[58:59], v[6:7], off offset:1024
	global_load_dwordx2 v[40:41], v[6:7], off offset:2176
	v_addc_co_u32_e64 v3, s[0:1], 0, v5, s[0:1]
	s_movk_i32 s0, 0x3000
	s_nop 0
	v_add_co_u32_e64 v22, s[0:1], s0, v4
	s_nop 1
	v_addc_co_u32_e64 v23, s[0:1], 0, v5, s[0:1]
	s_movk_i32 s0, 0x5000
	s_nop 0
	v_add_co_u32_e64 v24, s[0:1], s0, v4
	s_nop 1
	v_addc_co_u32_e64 v25, s[0:1], 0, v5, s[0:1]
	global_load_dwordx2 v[38:39], v[24:25], off offset:3712
	global_load_dwordx2 v[62:63], v[0:1], off
	global_load_dwordx2 v[30:31], v[6:7], off offset:3328
	global_load_dwordx2 v[28:29], v[24:25], off offset:256
	;; [unrolled: 1-line block ×4, first 2 shown]
	s_movk_i32 s0, 0x4000
	v_add_co_u32_e64 v50, s[0:1], s0, v4
	s_nop 1
	v_addc_co_u32_e64 v51, s[0:1], 0, v5, s[0:1]
	s_movk_i32 s0, 0x6000
	s_nop 0
	v_add_co_u32_e64 v0, s[0:1], s0, v4
	s_nop 1
	v_addc_co_u32_e64 v1, s[0:1], 0, v5, s[0:1]
	global_load_dwordx2 v[64:65], v[4:5], off
	global_load_dwordx2 v[42:43], v[4:5], off offset:1152
	global_load_dwordx2 v[32:33], v[4:5], off offset:2304
	global_load_dwordx2 v[16:17], v[4:5], off offset:3456
	global_load_dwordx2 v[52:53], v[22:23], off offset:1536
	global_load_dwordx2 v[18:19], v[22:23], off offset:384
	global_load_dwordx2 v[60:61], v[24:25], off offset:2560
	global_load_dwordx2 v[10:11], v[24:25], off offset:1408
	global_load_dwordx2 v[54:55], v[2:3], off offset:512
	global_load_dwordx2 v[48:49], v[2:3], off offset:1664
	global_load_dwordx2 v[36:37], v[2:3], off offset:2816
	global_load_dwordx2 v[20:21], v[2:3], off offset:3968
	global_load_dwordx2 v[26:27], v[0:1], off offset:768
	global_load_dwordx2 v[8:9], v[0:1], off offset:1920
	global_load_dwordx2 v[46:47], v[50:51], off offset:3200
                                        ; kill: killed $vgpr0 killed $vgpr1
                                        ; kill: killed $vgpr24 killed $vgpr25
                                        ; kill: killed $vgpr4 killed $vgpr5
                                        ; kill: killed $vgpr2 killed $vgpr3
                                        ; kill: killed $vgpr22 killed $vgpr23
	global_load_dwordx2 v[22:23], v[50:51], off offset:896
	s_waitcnt vmcnt(15)
	v_mov_b32_e32 v24, v65
	s_waitcnt vmcnt(14)
	v_mov_b32_e32 v6, v43
	;; [unrolled: 2-line block ×4, first 2 shown]
.LBB0_13:
	s_or_b64 exec, exec, s[10:11]
	s_waitcnt vmcnt(9)
	v_pk_add_f32 v[0:1], v[60:61], v[52:53]
	s_mov_b32 s0, 0x3f5db3d7
	s_waitcnt vmcnt(7)
	v_pk_fma_f32 v[50:51], v[0:1], 0.5, v[54:55] op_sel_hi:[1,0,1] neg_lo:[1,0,0] neg_hi:[1,0,0]
	v_pk_add_f32 v[0:1], v[52:53], v[60:61] neg_lo:[0,1] neg_hi:[0,1]
	v_pk_add_f32 v[66:67], v[54:55], v[52:53]
	v_pk_mul_f32 v[52:53], v[0:1], s[0:1] op_sel_hi:[1,0]
	v_pk_add_f32 v[54:55], v[58:59], v[62:63] neg_lo:[0,1] neg_hi:[0,1]
	v_pk_add_f32 v[0:1], v[50:51], v[52:53] op_sel:[0,1] op_sel_hi:[1,0] neg_lo:[0,1] neg_hi:[0,1]
	v_pk_add_f32 v[50:51], v[52:53], v[50:51] op_sel:[1,0] op_sel_hi:[0,1]
	v_pk_add_f32 v[52:53], v[58:59], v[62:63]
	v_mov_b32_e32 v56, v59
	v_mul_f32_e32 v3, 0.5, v52
	v_mov_b32_e32 v52, v59
	v_mov_b32_e32 v59, v3
	v_pk_add_f32 v[70:71], v[64:65], v[58:59]
	v_pk_add_f32 v[58:59], v[64:65], v[58:59] op_sel_hi:[0,1] neg_lo:[0,1] neg_hi:[0,1]
	v_mul_f32_e32 v3, 0x3f5db3d7, v55
	v_mov_b32_e32 v58, v63
	v_mov_b32_e32 v63, v3
	;; [unrolled: 1-line block ×4, first 2 shown]
	v_mul_f32_e32 v67, 0.5, v50
	v_mov_b32_e32 v57, v61
	v_mul_f32_e32 v61, 0x3f5db3d7, v1
	v_pk_add_f32 v[62:63], v[70:71], v[62:63]
	v_pk_add_f32 v[60:61], v[60:61], v[66:67]
	v_mul_f32_e32 v64, -0.5, v0
	v_fmac_f32_e32 v59, 0xbf5db3d7, v55
	v_mov_b32_e32 v65, v60
	v_fmac_f32_e32 v64, 0x3f5db3d7, v51
	v_mov_b32_e32 v67, v62
	v_mov_b32_e32 v66, v59
	v_pk_add_f32 v[66:67], v[66:67], v[64:65]
	v_pk_add_f32 v[70:71], v[62:63], v[60:61] op_sel:[1,1] op_sel_hi:[0,0] neg_lo:[0,1] neg_hi:[0,1]
	v_mov_b32_e32 v67, v71
	v_pk_add_f32 v[70:71], v[62:63], v[60:61]
	v_mov_b32_e32 v62, v63
	v_mov_b32_e32 v63, v59
	;; [unrolled: 1-line block ×4, first 2 shown]
	s_mov_b32 s4, 0xbf5db3d7
	v_mad_u32_u24 v3, v68, 24, 0
	v_pk_add_f32 v[60:61], v[62:63], v[60:61] neg_lo:[0,1] neg_hi:[0,1]
	s_mov_b32 s5, 0.5
	ds_write2_b64 v3, v[70:71], v[66:67] offset1:1
	ds_write_b64 v3, v[60:61] offset:16
	v_pk_add_f32 v[60:61], v[44:45], v[38:39]
	s_waitcnt vmcnt(6)
	v_pk_add_f32 v[66:67], v[44:45], v[48:49]
	v_pk_add_f32 v[44:45], v[44:45], v[38:39] neg_lo:[0,1] neg_hi:[0,1]
	s_mov_b32 s1, s5
	v_pk_fma_f32 v[60:61], v[60:61], 0.5, v[48:49] op_sel_hi:[1,0,1] neg_lo:[1,0,0] neg_hi:[1,0,0]
	v_pk_mul_f32 v[48:49], v[44:45], s[0:1] op_sel_hi:[1,0]
	s_waitcnt vmcnt(1)
	v_pk_add_f32 v[64:65], v[40:41], v[46:47] neg_lo:[0,1] neg_hi:[0,1]
	v_pk_add_f32 v[44:45], v[60:61], v[48:49] op_sel:[0,1] op_sel_hi:[1,0] neg_lo:[0,1] neg_hi:[0,1]
	v_pk_add_f32 v[48:49], v[48:49], v[60:61] op_sel:[1,0] op_sel_hi:[0,1]
	v_pk_add_f32 v[60:61], v[40:41], v[46:47]
	v_mov_b32_e32 v62, v41
	v_mul_f32_e32 v5, 0.5, v60
	v_mov_b32_e32 v60, v41
	v_mov_b32_e32 v41, v5
	v_pk_add_f32 v[70:71], v[42:43], v[40:41]
	v_pk_add_f32 v[40:41], v[42:43], v[40:41] op_sel_hi:[0,1] neg_lo:[0,1] neg_hi:[0,1]
	v_mul_f32_e32 v5, 0x3f5db3d7, v65
	v_mov_b32_e32 v40, v47
	v_mov_b32_e32 v47, v5
	;; [unrolled: 1-line block ×4, first 2 shown]
	v_mul_f32_e32 v67, 0.5, v48
	v_mov_b32_e32 v43, v39
	v_mul_f32_e32 v39, 0x3f5db3d7, v45
	v_pk_add_f32 v[70:71], v[70:71], v[46:47]
	v_pk_add_f32 v[38:39], v[38:39], v[66:67]
	v_mul_f32_e32 v46, -0.5, v44
	v_fmac_f32_e32 v41, 0xbf5db3d7, v65
	v_mov_b32_e32 v47, v38
	v_fmac_f32_e32 v46, 0x3f5db3d7, v49
	v_mov_b32_e32 v67, v70
	v_mov_b32_e32 v66, v41
	v_pk_add_f32 v[66:67], v[66:67], v[46:47]
	v_pk_add_f32 v[72:73], v[70:71], v[38:39] op_sel:[1,1] op_sel_hi:[0,0] neg_lo:[0,1] neg_hi:[0,1]
	v_add_u32_e32 v47, 0x90, v68
	v_mov_b32_e32 v67, v73
	v_mad_u32_u24 v63, v47, 24, 0
	v_pk_add_f32 v[72:73], v[70:71], v[38:39]
	ds_write2_b64 v63, v[72:73], v[66:67] offset1:1
	v_mov_b32_e32 v66, v71
	v_mov_b32_e32 v67, v41
	;; [unrolled: 1-line block ×4, first 2 shown]
	v_pk_add_f32 v[38:39], v[66:67], v[38:39] neg_lo:[0,1] neg_hi:[0,1]
	ds_write_b64 v63, v[38:39] offset:16
	v_pk_add_f32 v[38:39], v[26:27], v[34:35]
	v_pk_add_f32 v[70:71], v[36:37], v[34:35]
	v_pk_add_f32 v[34:35], v[34:35], v[26:27] neg_lo:[0,1] neg_hi:[0,1]
	v_pk_fma_f32 v[38:39], v[38:39], 0.5, v[36:37] op_sel_hi:[1,0,1] neg_lo:[1,0,0] neg_hi:[1,0,0]
	v_pk_mul_f32 v[36:37], v[34:35], s[0:1] op_sel_hi:[1,0]
	v_pk_add_f32 v[66:67], v[30:31], v[28:29] neg_lo:[0,1] neg_hi:[0,1]
	v_pk_add_f32 v[34:35], v[38:39], v[36:37] op_sel:[0,1] op_sel_hi:[1,0] neg_lo:[0,1] neg_hi:[0,1]
	v_pk_add_f32 v[36:37], v[36:37], v[38:39] op_sel:[1,0] op_sel_hi:[0,1]
	v_pk_add_f32 v[38:39], v[30:31], v[28:29]
	v_mov_b32_e32 v46, v31
	v_mul_f32_e32 v5, 0.5, v38
	v_mov_b32_e32 v38, v31
	v_mov_b32_e32 v31, v5
	v_pk_add_f32 v[72:73], v[32:33], v[30:31]
	v_pk_add_f32 v[30:31], v[32:33], v[30:31] op_sel_hi:[0,1] neg_lo:[0,1] neg_hi:[0,1]
	v_mul_f32_e32 v5, 0x3f5db3d7, v67
	v_mov_b32_e32 v30, v29
	v_mov_b32_e32 v29, v5
	;; [unrolled: 1-line block ×4, first 2 shown]
	v_mul_f32_e32 v71, 0.5, v36
	v_mov_b32_e32 v33, v27
	v_mul_f32_e32 v27, 0x3f5db3d7, v35
	v_pk_add_f32 v[28:29], v[72:73], v[28:29]
	v_pk_add_f32 v[26:27], v[26:27], v[70:71]
	v_mul_f32_e32 v70, -0.5, v34
	v_fmac_f32_e32 v31, 0xbf5db3d7, v67
	v_mov_b32_e32 v71, v26
	v_fmac_f32_e32 v70, 0x3f5db3d7, v37
	v_mov_b32_e32 v73, v28
	v_mov_b32_e32 v72, v31
	v_pk_add_f32 v[72:73], v[72:73], v[70:71]
	v_pk_add_f32 v[74:75], v[28:29], v[26:27] op_sel:[1,1] op_sel_hi:[0,0] neg_lo:[0,1] neg_hi:[0,1]
	v_mov_b32_e32 v73, v75
	v_add_u32_e32 v55, 0x120, v68
	v_pk_add_f32 v[74:75], v[28:29], v[26:27]
	v_mov_b32_e32 v28, v29
	v_mov_b32_e32 v29, v31
	;; [unrolled: 1-line block ×4, first 2 shown]
	v_mad_u32_u24 v65, v55, 24, 0
	v_pk_add_f32 v[26:27], v[28:29], v[26:27] neg_lo:[0,1] neg_hi:[0,1]
	ds_write_b64 v65, v[26:27] offset:16
	s_waitcnt vmcnt(0)
	v_pk_add_f32 v[26:27], v[22:23], v[8:9]
	v_pk_add_f32 v[80:81], v[18:19], v[10:11]
	v_pk_fma_f32 v[26:27], v[26:27], 0.5, v[20:21] op_sel_hi:[1,0,1] neg_lo:[1,0,0] neg_hi:[1,0,0]
	v_pk_add_f32 v[20:21], v[22:23], v[20:21]
	v_pk_add_f32 v[22:23], v[22:23], v[8:9] neg_lo:[0,1] neg_hi:[0,1]
	v_pk_add_f32 v[82:83], v[18:19], v[10:11] neg_lo:[0,1] neg_hi:[0,1]
	v_pk_mul_f32 v[22:23], v[22:23], s[0:1] op_sel_hi:[1,0]
	v_mov_b32_e32 v84, v19
	v_pk_add_f32 v[76:77], v[26:27], v[22:23] op_sel:[0,1] op_sel_hi:[1,0] neg_lo:[0,1] neg_hi:[0,1]
	v_pk_add_f32 v[78:79], v[22:23], v[26:27] op_sel:[1,0] op_sel_hi:[0,1]
	v_mul_f32_e32 v22, 0.5, v80
	v_mov_b32_e32 v80, v19
	v_mov_b32_e32 v19, v22
	v_pk_add_f32 v[22:23], v[16:17], v[18:19]
	v_pk_add_f32 v[16:17], v[16:17], v[18:19] op_sel_hi:[0,1] neg_lo:[0,1] neg_hi:[0,1]
	v_mul_f32_e32 v16, 0x3f5db3d7, v83
	v_mov_b32_e32 v86, v11
	v_mov_b32_e32 v11, v16
	;; [unrolled: 1-line block ×4, first 2 shown]
	v_mul_f32_e32 v21, 0.5, v78
	v_mov_b32_e32 v91, v9
	v_mul_f32_e32 v9, 0x3f5db3d7, v77
	v_pk_add_f32 v[10:11], v[22:23], v[10:11]
	v_pk_add_f32 v[8:9], v[8:9], v[20:21]
	v_mul_f32_e32 v18, -0.5, v76
	v_fmac_f32_e32 v17, 0xbf5db3d7, v83
	v_mov_b32_e32 v19, v8
	v_fmac_f32_e32 v18, 0x3f5db3d7, v79
	v_mov_b32_e32 v21, v10
	v_mov_b32_e32 v20, v17
	v_pk_add_f32 v[20:21], v[20:21], v[18:19]
	v_pk_add_f32 v[22:23], v[10:11], v[8:9] op_sel:[1,1] op_sel_hi:[0,0] neg_lo:[0,1] neg_hi:[0,1]
	v_mov_b32_e32 v21, v23
	v_add_u32_e32 v83, 0x2880, v3
	v_pk_add_f32 v[22:23], v[10:11], v[8:9]
	v_mul_f32_e32 v53, 0.5, v53
	ds_write2_b64 v65, v[74:75], v[72:73] offset1:1
	ds_write2_b64 v83, v[22:23], v[20:21] offset1:1
	v_mul_f32_e32 v59, 0x3f5db3d7, v54
	v_pk_add_f32 v[22:23], v[24:25], v[52:53] op_sel_hi:[0,1] neg_lo:[0,1] neg_hi:[0,1]
	v_pk_add_f32 v[20:21], v[24:25], v[56:57] op_sel_hi:[0,1]
	v_pk_add_f32 v[92:93], v[22:23], v[58:59] neg_lo:[0,1] neg_hi:[0,1]
	v_mov_b32_e32 v56, v23
	v_pk_mul_f32 v[22:23], v[50:51], s[0:1]
	v_mov_b32_e32 v24, v59
	v_pk_fma_f32 v[96:97], v[0:1], s[4:5], v[22:23] op_sel:[0,0,1] op_sel_hi:[1,1,0] neg_lo:[0,0,1] neg_hi:[0,0,1]
	v_mov_b32_e32 v16, v11
	v_mov_b32_e32 v0, v9
	;; [unrolled: 1-line block ×3, first 2 shown]
	v_pk_add_f32 v[20:21], v[20:21], v[58:59]
	v_pk_add_f32 v[94:95], v[24:25], v[56:57]
	v_pk_add_f32 v[0:1], v[16:17], v[0:1] neg_lo:[0,1] neg_hi:[0,1]
	ds_write_b64 v3, v[0:1] offset:10384
	v_mov_b32_e32 v21, v93
	v_mov_b32_e32 v0, v95
	;; [unrolled: 1-line block ×3, first 2 shown]
	v_pk_add_f32 v[98:99], v[20:21], v[0:1]
	v_mov_b32_e32 v1, v20
	v_pk_add_f32 v[0:1], v[0:1], v[94:95] neg_lo:[0,1] neg_hi:[0,1]
	v_pk_add_f32 v[100:101], v[96:97], v[94:95]
	v_mul_f32_e32 v61, 0.5, v61
	v_mov_b32_e32 v95, v93
	v_mul_f32_e32 v41, 0x3f5db3d7, v64
	v_pk_add_f32 v[92:93], v[94:95], v[96:97] neg_lo:[0,1] neg_hi:[0,1]
	v_pk_add_f32 v[94:95], v[6:7], v[62:63] op_sel_hi:[0,1]
	v_pk_add_f32 v[60:61], v[6:7], v[60:61] op_sel_hi:[0,1] neg_lo:[0,1] neg_hi:[0,1]
	v_pk_add_f32 v[94:95], v[94:95], v[40:41]
	v_mov_b32_e32 v6, v41
	v_mov_b32_e32 v42, v61
	s_movk_i32 s10, 0xffec
	v_pk_add_f32 v[6:7], v[6:7], v[42:43]
	v_pk_mul_f32 v[42:43], v[48:49], s[0:1]
	v_mov_b32_e32 v31, v94
	v_mul_f32_e32 v39, 0.5, v39
	v_mad_i32_i24 v52, v68, s10, v3
	v_mad_i32_i24 v51, v55, s10, v65
	v_pk_add_f32 v[40:41], v[60:61], v[40:41] neg_lo:[0,1] neg_hi:[0,1]
	v_pk_fma_f32 v[42:43], v[44:45], s[4:5], v[42:43] op_sel:[0,0,1] op_sel_hi:[1,1,0] neg_lo:[0,0,1] neg_hi:[0,0,1]
	v_mov_b32_e32 v44, v93
	v_mov_b32_e32 v45, v92
	v_pk_add_f32 v[48:49], v[30:31], v[6:7] neg_lo:[0,1] neg_hi:[0,1]
	v_mul_f32_e32 v31, 0x3f5db3d7, v66
	v_pk_add_f32 v[38:39], v[4:5], v[38:39] op_sel_hi:[0,1] neg_lo:[0,1] neg_hi:[0,1]
	v_mov_b32_e32 v101, v1
	s_load_dwordx2 s[2:3], s[2:3], 0x0
	s_waitcnt lgkmcnt(0)
	s_barrier
	v_mad_i32_i24 v50, v47, s10, v63
	ds_read_b32 v74, v52
	v_add_u32_e32 v56, 0x600, v52
	v_add_u32_e32 v59, 0xf00, v52
	;; [unrolled: 1-line block ×10, first 2 shown]
	ds_read_b32 v72, v51
	ds_read_b32 v73, v50
	ds_read_b32 v75, v52 offset:13248
	ds_read2_b32 v[0:1], v56 offset0:48 offset1:192
	ds_read2_b32 v[20:21], v59 offset0:48 offset1:192
	;; [unrolled: 1-line block ×10, first 2 shown]
	s_waitcnt lgkmcnt(0)
	s_barrier
	ds_write_b64 v3, v[44:45] offset:16
	v_mov_b32_e32 v95, v41
	v_mov_b32_e32 v44, v7
	v_pk_add_f32 v[60:61], v[42:43], v[6:7]
	v_mov_b32_e32 v7, v41
	v_pk_add_f32 v[40:41], v[4:5], v[46:47] op_sel_hi:[0,1]
	v_mov_b32_e32 v4, v31
	v_mov_b32_e32 v32, v39
	v_pk_add_f32 v[40:41], v[40:41], v[30:31]
	v_pk_add_f32 v[4:5], v[4:5], v[32:33]
	v_pk_mul_f32 v[32:33], v[36:37], s[0:1]
	v_pk_add_f32 v[30:31], v[38:39], v[30:31] neg_lo:[0,1] neg_hi:[0,1]
	v_pk_fma_f32 v[32:33], v[34:35], s[4:5], v[32:33] op_sel:[0,0,1] op_sel_hi:[1,1,0] neg_lo:[0,0,1] neg_hi:[0,0,1]
	v_mov_b32_e32 v37, v40
	v_mul_f32_e32 v85, 0.5, v81
	v_mov_b32_e32 v34, v5
	v_pk_add_f32 v[36:37], v[36:37], v[4:5] neg_lo:[0,1] neg_hi:[0,1]
	v_pk_add_f32 v[38:39], v[32:33], v[4:5]
	v_mov_b32_e32 v5, v31
	v_mov_b32_e32 v45, v43
	v_mul_f32_e32 v87, 0x3f5db3d7, v82
	v_mov_b32_e32 v35, v33
	v_pk_add_f32 v[4:5], v[4:5], v[32:33] neg_lo:[0,1] neg_hi:[0,1]
	v_pk_add_f32 v[32:33], v[2:3], v[84:85] op_sel_hi:[0,1] neg_lo:[0,1] neg_hi:[0,1]
	v_pk_add_f32 v[44:45], v[94:95], v[44:45]
	v_mov_b32_e32 v61, v49
	v_pk_add_f32 v[6:7], v[6:7], v[42:43] neg_lo:[0,1] neg_hi:[0,1]
	v_mov_b32_e32 v41, v31
	v_pk_add_f32 v[30:31], v[2:3], v[80:81] op_sel_hi:[0,1]
	v_mov_b32_e32 v88, v87
	v_mov_b32_e32 v90, v33
	v_pk_mul_f32 v[42:43], v[78:79], s[0:1]
	ds_write2_b64 v3, v[98:99], v[100:101] offset1:1
	ds_write2_b64 v63, v[44:45], v[60:61] offset1:1
	v_pk_add_f32 v[34:35], v[40:41], v[34:35]
	v_pk_add_f32 v[30:31], v[30:31], v[86:87]
	v_pk_add_f32 v[40:41], v[32:33], v[86:87] neg_lo:[0,1] neg_hi:[0,1]
	v_pk_add_f32 v[32:33], v[88:89], v[90:91]
	v_pk_fma_f32 v[42:43], v[76:77], s[4:5], v[42:43] op_sel:[0,0,1] op_sel_hi:[1,1,0] neg_lo:[0,0,1] neg_hi:[0,0,1]
	v_mov_b32_e32 v44, v7
	v_mov_b32_e32 v45, v6
	;; [unrolled: 1-line block ×3, first 2 shown]
	ds_write_b64 v63, v[44:45] offset:16
	v_mov_b32_e32 v31, v41
	v_mov_b32_e32 v7, v30
	ds_write2_b64 v65, v[34:35], v[38:39] offset1:1
	v_mov_b32_e32 v34, v5
	v_mov_b32_e32 v35, v4
	;; [unrolled: 1-line block ×4, first 2 shown]
	s_mov_b32 s0, 0xaaab
	v_pk_add_f32 v[4:5], v[30:31], v[4:5]
	v_pk_add_f32 v[30:31], v[42:43], v[32:33]
	v_pk_add_f32 v[6:7], v[6:7], v[32:33] neg_lo:[0,1] neg_hi:[0,1]
	v_mov_b32_e32 v33, v41
	v_mul_u32_u24_sdwa v2, v47, s0 dst_sel:DWORD dst_unused:UNUSED_PAD src0_sel:WORD_0 src1_sel:DWORD
	v_pk_add_f32 v[32:33], v[32:33], v[42:43] neg_lo:[0,1] neg_hi:[0,1]
	v_mov_b32_e32 v31, v7
	v_lshrrev_b32_e32 v6, 18, v2
	ds_write_b64 v65, v[34:35] offset:16
	ds_write2_b64 v83, v[4:5], v[30:31] offset1:1
	v_mov_b32_e32 v4, v33
	v_mov_b32_e32 v5, v32
	v_mul_lo_u16_e32 v2, 6, v6
	ds_write_b64 v3, v[4:5] offset:10384
	v_sub_u16_e32 v5, v47, v2
	v_mul_u32_u24_e32 v2, 5, v5
	v_lshlrev_b32_e32 v7, 3, v2
	v_mul_u32_u24_sdwa v2, v55, s0 dst_sel:DWORD dst_unused:UNUSED_PAD src0_sel:WORD_0 src1_sel:DWORD
	v_lshrrev_b32_e32 v32, 18, v2
	s_waitcnt lgkmcnt(0)
	s_barrier
	global_load_dwordx4 v[36:39], v7, s[8:9]
	v_mul_lo_u16_e32 v2, 6, v32
	v_sub_u16_e32 v4, v55, v2
	v_mul_u32_u24_e32 v2, 5, v4
	v_lshlrev_b32_e32 v46, 3, v2
	global_load_dwordx4 v[40:43], v46, s[8:9]
	global_load_dwordx4 v[76:79], v7, s[8:9] offset:16
	global_load_dwordx4 v[80:83], v46, s[8:9] offset:16
	ds_read2_b32 v[2:3], v70 offset0:80 offset1:224
	ds_read2_b32 v[44:45], v71 offset0:16 offset1:160
	s_movk_i32 s1, 0xab
	global_load_dwordx2 v[48:49], v7, s[8:9] offset:32
	v_mov_b32_e32 v31, 5
	v_lshlrev_b32_e32 v5, 2, v5
	v_lshlrev_b32_e32 v4, 2, v4
	s_movk_i32 s5, 0x3000
	s_movk_i32 s4, 0xd80
	s_waitcnt vmcnt(4)
	v_mul_f32_e32 v34, v28, v37
	s_waitcnt lgkmcnt(1)
	v_mul_f32_e32 v30, v2, v37
	v_fmac_f32_e32 v34, v2, v36
	s_waitcnt lgkmcnt(0)
	v_mul_f32_e32 v2, v44, v39
	v_fma_f32 v33, v28, v36, -v30
	v_fma_f32 v35, v26, v38, -v2
	s_waitcnt vmcnt(3)
	v_mul_f32_e32 v2, v3, v41
	v_add_u32_e32 v30, 0x1b0, v68
	v_fma_f32 v37, v29, v40, -v2
	v_mul_u32_u24_sdwa v2, v30, s0 dst_sel:DWORD dst_unused:UNUSED_PAD src0_sel:WORD_0 src1_sel:DWORD
	v_lshrrev_b32_e32 v64, 18, v2
	v_mul_lo_u16_e32 v2, 6, v64
	v_sub_u16_e32 v66, v30, v2
	v_mul_u32_u24_e32 v2, 5, v66
	v_lshlrev_b32_e32 v92, 3, v2
	global_load_dwordx4 v[88:91], v92, s[8:9]
	v_mul_lo_u16_sdwa v7, v68, s1 dst_sel:DWORD dst_unused:UNUSED_PAD src0_sel:BYTE_0 src1_sel:DWORD
	v_lshrrev_b16_e32 v7, 10, v7
	v_mul_f32_e32 v36, v26, v39
	v_mul_lo_u16_e32 v26, 6, v7
	v_sub_u16_e32 v39, v68, v26
	v_mul_u32_u24_sdwa v26, v39, v31 dst_sel:DWORD dst_unused:UNUSED_PAD src0_sel:BYTE_0 src1_sel:DWORD
	v_lshlrev_b32_e32 v62, 3, v26
	global_load_dwordx4 v[84:87], v62, s[8:9]
	v_mul_f32_e32 v26, v45, v43
	v_fmac_f32_e32 v36, v44, v38
	v_mul_f32_e32 v38, v29, v41
	v_fma_f32 v93, v27, v42, -v26
	v_mul_f32_e32 v94, v27, v43
	global_load_dwordx4 v[26:29], v62, s[8:9] offset:16
	v_fmac_f32_e32 v38, v3, v40
	ds_read2_b32 v[2:3], v67 offset0:80 offset1:224
	s_waitcnt vmcnt(5)
	v_mul_f32_e32 v96, v24, v77
	v_fmac_f32_e32 v94, v45, v42
	ds_read2_b32 v[44:45], v69 offset0:16 offset1:160
	v_mul_u32_u24_e32 v7, 0x90, v7
	s_waitcnt lgkmcnt(1)
	v_mul_f32_e32 v40, v2, v77
	v_fma_f32 v95, v24, v76, -v40
	v_fmac_f32_e32 v96, v2, v76
	global_load_dwordx4 v[40:43], v92, s[8:9] offset:16
	global_load_dwordx2 v[60:61], v62, s[8:9] offset:32
	global_load_dwordx2 v[76:77], v46, s[8:9] offset:32
	s_waitcnt lgkmcnt(0)
	v_mul_f32_e32 v2, v44, v79
	v_fma_f32 v97, v22, v78, -v2
	s_waitcnt vmcnt(7)
	v_mul_f32_e32 v2, v3, v81
	v_fma_f32 v46, v25, v80, -v2
	v_mul_f32_e32 v62, v25, v81
	global_load_dwordx2 v[24:25], v92, s[8:9] offset:32
	v_mul_f32_e32 v79, v22, v79
	v_mul_f32_e32 v2, v45, v83
	v_fmac_f32_e32 v79, v44, v78
	v_fmac_f32_e32 v62, v3, v80
	v_fma_f32 v78, v23, v82, -v2
	ds_read2_b32 v[2:3], v56 offset0:48 offset1:192
	v_mul_f32_e32 v80, v23, v83
	ds_read2_b32 v[22:23], v59 offset0:48 offset1:192
	v_fmac_f32_e32 v80, v45, v82
	s_mov_b32 s0, 0x5040100
	v_perm_b32 v6, v32, v6, s0
	s_movk_i32 s1, 0x90
	v_pk_mul_lo_u16 v6, v6, s1 op_sel_hi:[1,0]
	s_mov_b32 s1, 0xe38f
	s_waitcnt vmcnt(5) lgkmcnt(1)
	v_mul_f32_e32 v44, v3, v85
	v_fma_f32 v81, v1, v84, -v44
	ds_read2_b32 v[44:45], v58 offset0:48 offset1:192
	v_mul_f32_e32 v82, v1, v85
	s_waitcnt lgkmcnt(1)
	v_mul_f32_e32 v1, v23, v87
	v_fmac_f32_e32 v82, v3, v84
	v_fma_f32 v1, v21, v86, -v1
	v_mul_f32_e32 v3, v21, v87
	v_mul_f32_e32 v21, v22, v89
	v_fma_f32 v83, v20, v88, -v21
	v_mul_f32_e32 v84, v20, v89
	s_waitcnt lgkmcnt(0)
	v_mul_f32_e32 v20, v44, v91
	v_fma_f32 v85, v18, v90, -v20
	ds_read2_b32 v[20:21], v57 offset0:48 offset1:192
	v_fmac_f32_e32 v3, v23, v86
	v_mul_f32_e32 v86, v18, v91
	s_waitcnt vmcnt(4)
	v_mul_f32_e32 v18, v45, v27
	v_fmac_f32_e32 v84, v22, v88
	v_fma_f32 v22, v19, v26, -v18
	s_waitcnt lgkmcnt(0)
	v_mul_f32_e32 v18, v21, v29
	v_mul_f32_e32 v23, v19, v27
	v_fma_f32 v27, v17, v28, -v18
	ds_read2_b32 v[18:19], v54 offset0:48 offset1:192
	v_mul_f32_e32 v29, v17, v29
	s_waitcnt vmcnt(3)
	v_mul_f32_e32 v17, v20, v41
	v_fmac_f32_e32 v23, v45, v26
	v_fmac_f32_e32 v29, v21, v28
	v_fma_f32 v21, v16, v40, -v17
	v_mul_f32_e32 v26, v16, v41
	s_waitcnt lgkmcnt(0)
	v_mul_f32_e32 v16, v18, v43
	v_fmac_f32_e32 v26, v20, v40
	v_fma_f32 v40, v10, v42, -v16
	ds_read2_b32 v[16:17], v53 offset0:80 offset1:224
	v_mul_f32_e32 v41, v10, v43
	v_fmac_f32_e32 v41, v18, v42
	v_mul_f32_e32 v42, v8, v49
	s_waitcnt vmcnt(1)
	v_mul_f32_e32 v43, v9, v77
	s_waitcnt lgkmcnt(0)
	v_mul_f32_e32 v18, v16, v49
	v_fma_f32 v18, v8, v48, -v18
	v_mul_f32_e32 v8, v17, v77
	v_fma_f32 v8, v9, v76, -v8
	ds_read_b32 v9, v52 offset:13248
	v_fmac_f32_e32 v42, v16, v48
	v_fmac_f32_e32 v86, v44, v90
	v_mul_f32_e32 v10, v19, v61
	v_fmac_f32_e32 v43, v17, v76
	s_waitcnt vmcnt(0) lgkmcnt(0)
	v_mul_f32_e32 v16, v9, v25
	v_fma_f32 v16, v75, v24, -v16
	v_mul_f32_e32 v49, v75, v25
	v_add_f32_e32 v17, v85, v40
	v_fma_f32 v10, v11, v60, -v10
	v_mul_f32_e32 v11, v11, v61
	v_fmac_f32_e32 v49, v9, v24
	v_add_f32_e32 v9, v0, v85
	v_fmac_f32_e32 v0, -0.5, v17
	v_sub_f32_e32 v17, v86, v41
	v_add_f32_e32 v20, v21, v16
	v_fmac_f32_e32 v11, v19, v60
	v_fmamk_f32 v19, v17, 0x3f5db3d7, v0
	v_fmac_f32_e32 v0, 0xbf5db3d7, v17
	v_add_f32_e32 v17, v83, v21
	v_fmac_f32_e32 v83, -0.5, v20
	v_sub_f32_e32 v20, v26, v49
	v_fmamk_f32 v60, v20, 0x3f5db3d7, v83
	v_fmac_f32_e32 v83, 0xbf5db3d7, v20
	v_add_f32_e32 v20, v26, v49
	v_add_f32_e32 v61, v84, v26
	v_fmac_f32_e32 v84, -0.5, v20
	v_sub_f32_e32 v20, v21, v16
	v_fmamk_f32 v75, v20, 0xbf5db3d7, v84
	v_fmac_f32_e32 v84, 0x3f5db3d7, v20
	v_mul_f32_e32 v20, -0.5, v83
	v_fmac_f32_e32 v20, 0x3f5db3d7, v84
	v_add_f32_e32 v24, v1, v27
	v_add_f32_e32 v25, v22, v10
	;; [unrolled: 1-line block ×4, first 2 shown]
	v_sub_f32_e32 v0, v0, v20
	v_add_f32_e32 v20, v74, v1
	v_fmac_f32_e32 v74, -0.5, v24
	v_add_f32_e32 v24, v81, v22
	v_fmac_f32_e32 v81, -0.5, v25
	;; [unrolled: 2-line block ×3, first 2 shown]
	v_mov_b32_e32 v26, 2
	v_add_f32_e32 v24, v24, v10
	v_sub_f32_e32 v10, v22, v10
	v_lshlrev_b32_sdwa v22, v26, v39 dst_sel:DWORD dst_unused:UNUSED_PAD src0_sel:DWORD src1_sel:BYTE_0
	v_add3_u32 v39, 0, v7, v22
	v_add_f32_e32 v7, v20, v27
	v_sub_f32_e32 v20, v23, v11
	v_fmamk_f32 v22, v20, 0x3f5db3d7, v81
	v_fmac_f32_e32 v81, 0xbf5db3d7, v20
	v_fmamk_f32 v23, v10, 0xbf5db3d7, v82
	v_sub_f32_e32 v76, v3, v29
	v_fmac_f32_e32 v82, 0x3f5db3d7, v10
	v_mul_f32_e32 v10, -0.5, v81
	v_mul_f32_e32 v28, 0x3f5db3d7, v23
	v_fmamk_f32 v77, v76, 0x3f5db3d7, v74
	v_fmac_f32_e32 v74, 0xbf5db3d7, v76
	v_fmac_f32_e32 v10, 0x3f5db3d7, v82
	v_fmac_f32_e32 v28, 0.5, v22
	v_add_f32_e32 v87, v7, v24
	v_sub_f32_e32 v7, v7, v24
	v_add_f32_e32 v20, v74, v10
	ds_read_b32 v44, v51
	ds_read_b32 v45, v50
	;; [unrolled: 1-line block ×3, first 2 shown]
	s_waitcnt lgkmcnt(0)
	s_barrier
	ds_write2_b32 v39, v20, v7 offset0:12 offset1:18
	v_sub_f32_e32 v7, v77, v28
	v_sub_f32_e32 v10, v74, v10
	ds_write2_b32 v39, v7, v10 offset0:24 offset1:30
	v_add_f32_e32 v10, v35, v97
	v_add_f32_e32 v20, v95, v18
	;; [unrolled: 1-line block ×3, first 2 shown]
	v_fmac_f32_e32 v73, -0.5, v10
	v_add_f32_e32 v10, v33, v95
	v_fmac_f32_e32 v33, -0.5, v20
	v_add_f32_e32 v20, v96, v42
	v_add_f32_e32 v74, v34, v96
	v_fmac_f32_e32 v34, -0.5, v20
	v_and_b32_e32 v20, 0xfff0, v6
	v_add3_u32 v76, 0, v20, v5
	v_add_f32_e32 v5, v7, v97
	v_sub_f32_e32 v7, v96, v42
	v_add_f32_e32 v88, v77, v28
	v_add_f32_e32 v10, v10, v18
	v_sub_f32_e32 v18, v95, v18
	v_fmamk_f32 v77, v7, 0x3f5db3d7, v33
	v_fmac_f32_e32 v33, 0xbf5db3d7, v7
	ds_write2_b32 v39, v87, v88 offset1:6
	v_fmamk_f32 v87, v18, 0xbf5db3d7, v34
	v_sub_f32_e32 v24, v36, v79
	v_fmac_f32_e32 v34, 0x3f5db3d7, v18
	v_mul_f32_e32 v7, -0.5, v33
	v_mul_f32_e32 v20, 0x3f5db3d7, v87
	v_fmamk_f32 v28, v24, 0x3f5db3d7, v73
	v_fmac_f32_e32 v73, 0xbf5db3d7, v24
	v_fmac_f32_e32 v7, 0x3f5db3d7, v34
	v_fmac_f32_e32 v20, 0.5, v77
	v_add_f32_e32 v32, v5, v10
	v_sub_f32_e32 v5, v5, v10
	v_add_f32_e32 v10, v73, v7
	ds_write2_b32 v76, v10, v5 offset0:12 offset1:18
	v_sub_f32_e32 v5, v28, v20
	v_sub_f32_e32 v7, v73, v7
	ds_write2_b32 v76, v5, v7 offset0:24 offset1:30
	v_add_f32_e32 v7, v93, v78
	v_add_f32_e32 v5, v72, v93
	v_fmac_f32_e32 v72, -0.5, v7
	v_add_f32_e32 v7, v37, v46
	v_add_f32_e32 v10, v46, v8
	v_lshrrev_b32_e32 v6, 16, v6
	v_fmac_f32_e32 v37, -0.5, v10
	v_add_f32_e32 v10, v62, v43
	v_add_f32_e32 v7, v7, v8
	v_sub_f32_e32 v8, v46, v8
	v_add3_u32 v46, 0, v6, v4
	v_add_f32_e32 v4, v5, v78
	v_sub_f32_e32 v5, v62, v43
	v_add_f32_e32 v88, v28, v20
	v_add_f32_e32 v73, v38, v62
	v_fmac_f32_e32 v38, -0.5, v10
	v_fmamk_f32 v62, v5, 0x3f5db3d7, v37
	v_fmac_f32_e32 v37, 0xbf5db3d7, v5
	ds_write2_b32 v76, v32, v88 offset1:6
	v_fmamk_f32 v88, v8, 0xbf5db3d7, v38
	v_sub_f32_e32 v10, v94, v80
	v_fmac_f32_e32 v38, 0x3f5db3d7, v8
	v_mul_f32_e32 v5, -0.5, v37
	v_mul_f32_e32 v6, 0x3f5db3d7, v88
	v_fmamk_f32 v18, v10, 0x3f5db3d7, v72
	v_fmac_f32_e32 v72, 0xbf5db3d7, v10
	v_fmac_f32_e32 v5, 0x3f5db3d7, v38
	v_fmac_f32_e32 v6, 0.5, v62
	v_add_f32_e32 v20, v4, v7
	v_sub_f32_e32 v4, v4, v7
	v_add_f32_e32 v7, v72, v5
	ds_write2_b32 v46, v7, v4 offset0:12 offset1:18
	v_sub_f32_e32 v4, v18, v6
	v_sub_f32_e32 v5, v72, v5
	v_add_f32_e32 v24, v18, v6
	ds_write2_b32 v46, v4, v5 offset0:24 offset1:30
	v_mul_u32_u24_e32 v5, 0x90, v64
	v_lshlrev_b32_e32 v6, 2, v66
	v_add_f32_e32 v4, v17, v16
	v_add3_u32 v64, 0, v5, v6
	v_add_f32_e32 v5, v9, v40
	v_mul_f32_e32 v6, 0x3f5db3d7, v75
	v_fmac_f32_e32 v6, 0.5, v60
	v_add_f32_e32 v7, v5, v4
	v_sub_f32_e32 v4, v5, v4
	ds_write2_b32 v46, v20, v24 offset1:6
	ds_write2_b32 v64, v21, v4 offset0:12 offset1:18
	v_sub_f32_e32 v4, v19, v6
	ds_write2_b32 v64, v4, v0 offset0:24 offset1:30
	v_add_f32_e32 v0, v48, v3
	v_add_f32_e32 v66, v0, v29
	;; [unrolled: 1-line block ×3, first 2 shown]
	v_fmac_f32_e32 v48, -0.5, v0
	v_sub_f32_e32 v3, v1, v27
	v_fmamk_f32 v90, v3, 0xbf5db3d7, v48
	v_fmac_f32_e32 v48, 0x3f5db3d7, v3
	v_mul_f32_e32 v3, -0.5, v82
	v_add_f32_e32 v72, v25, v11
	v_mul_f32_e32 v89, 0xbf5db3d7, v22
	v_fmac_f32_e32 v3, 0xbf5db3d7, v81
	v_add_f32_e32 v8, v19, v6
	v_fmac_f32_e32 v89, 0.5, v23
	v_add_f32_e32 v91, v66, v72
	v_sub_f32_e32 v66, v66, v72
	v_add_f32_e32 v72, v48, v3
	ds_write2_b32 v64, v7, v8 offset1:6
	s_waitcnt lgkmcnt(0)
	s_barrier
	ds_read_b32 v29, v52
	ds_read_b32 v27, v51
	;; [unrolled: 1-line block ×3, first 2 shown]
	ds_read_b32 v32, v52 offset:13248
	ds_read2_b32 v[0:1], v56 offset0:48 offset1:192
	ds_read2_b32 v[16:17], v59 offset0:48 offset1:192
	ds_read2_b32 v[10:11], v58 offset0:48 offset1:192
	ds_read2_b32 v[8:9], v57 offset0:48 offset1:192
	ds_read2_b32 v[6:7], v54 offset0:48 offset1:192
	ds_read2_b32 v[24:25], v70 offset0:80 offset1:224
	ds_read2_b32 v[22:23], v71 offset0:16 offset1:160
	ds_read2_b32 v[20:21], v67 offset0:80 offset1:224
	ds_read2_b32 v[18:19], v69 offset0:16 offset1:160
	ds_read2_b32 v[4:5], v53 offset0:80 offset1:224
	s_waitcnt lgkmcnt(0)
	s_barrier
	ds_write2_b32 v39, v72, v66 offset0:12 offset1:18
	v_sub_f32_e32 v66, v90, v89
	v_sub_f32_e32 v3, v48, v3
	ds_write2_b32 v39, v66, v3 offset0:24 offset1:30
	v_add_f32_e32 v3, v45, v36
	v_add_f32_e32 v36, v36, v79
	;; [unrolled: 1-line block ×3, first 2 shown]
	v_fmac_f32_e32 v45, -0.5, v36
	v_sub_f32_e32 v35, v35, v97
	v_mul_f32_e32 v34, -0.5, v34
	ds_write2_b32 v39, v91, v92 offset1:6
	v_add_f32_e32 v3, v3, v79
	v_add_f32_e32 v36, v74, v42
	v_mul_f32_e32 v39, 0xbf5db3d7, v77
	v_fmamk_f32 v42, v35, 0xbf5db3d7, v45
	v_fmac_f32_e32 v45, 0x3f5db3d7, v35
	v_fmac_f32_e32 v34, 0xbf5db3d7, v33
	v_fmac_f32_e32 v39, 0.5, v87
	v_add_f32_e32 v48, v3, v36
	v_sub_f32_e32 v3, v3, v36
	v_add_f32_e32 v33, v45, v34
	ds_write2_b32 v76, v33, v3 offset0:12 offset1:18
	v_sub_f32_e32 v3, v42, v39
	v_sub_f32_e32 v33, v45, v34
	ds_write2_b32 v76, v3, v33 offset0:24 offset1:30
	v_add_f32_e32 v33, v86, v41
	v_add_f32_e32 v3, v2, v86
	v_fmac_f32_e32 v2, -0.5, v33
	v_sub_f32_e32 v33, v85, v40
	v_fmamk_f32 v34, v33, 0xbf5db3d7, v2
	v_fmac_f32_e32 v2, 0x3f5db3d7, v33
	v_mul_f32_e32 v33, -0.5, v84
	v_fmac_f32_e32 v33, 0xbf5db3d7, v83
	v_mul_f32_e32 v36, 0xbf5db3d7, v60
	v_add_f32_e32 v35, v2, v33
	v_sub_f32_e32 v2, v2, v33
	v_add_f32_e32 v3, v3, v41
	v_add_f32_e32 v33, v61, v49
	v_fmac_f32_e32 v36, 0.5, v75
	v_add_f32_e32 v40, v94, v80
	v_add_f32_e32 v66, v42, v39
	;; [unrolled: 1-line block ×3, first 2 shown]
	v_sub_f32_e32 v3, v3, v33
	v_add_f32_e32 v33, v34, v36
	v_sub_f32_e32 v34, v34, v36
	v_add_f32_e32 v36, v44, v94
	v_fmac_f32_e32 v44, -0.5, v40
	v_sub_f32_e32 v40, v93, v78
	v_mul_f32_e32 v42, 0xbf5db3d7, v62
	v_add_f32_e32 v36, v36, v80
	v_fmamk_f32 v41, v40, 0xbf5db3d7, v44
	v_fmac_f32_e32 v44, 0x3f5db3d7, v40
	v_add_f32_e32 v40, v73, v43
	v_fmac_f32_e32 v42, 0.5, v88
	v_mul_f32_e32 v38, -0.5, v38
	v_fmac_f32_e32 v38, 0xbf5db3d7, v37
	v_add_f32_e32 v37, v36, v40
	v_sub_f32_e32 v36, v36, v40
	v_add_f32_e32 v40, v41, v42
	ds_write2_b32 v76, v48, v66 offset1:6
	v_sub_f32_e32 v41, v41, v42
	v_add_f32_e32 v42, v44, v38
	v_sub_f32_e32 v38, v44, v38
	ds_write2_b32 v46, v37, v40 offset1:6
	ds_write2_b32 v46, v42, v36 offset0:12 offset1:18
	ds_write2_b32 v46, v41, v38 offset0:24 offset1:30
	ds_write2_b32 v64, v39, v33 offset1:6
	ds_write2_b32 v64, v35, v3 offset0:12 offset1:18
	ds_write2_b32 v64, v34, v2 offset0:24 offset1:30
	v_mul_u32_u24_sdwa v2, v47, s1 dst_sel:DWORD dst_unused:UNUSED_PAD src0_sel:WORD_0 src1_sel:DWORD
	v_lshrrev_b32_e32 v35, 21, v2
	v_mul_lo_u16_e32 v2, 36, v35
	v_sub_u16_e32 v34, v47, v2
	v_mul_u32_u24_e32 v2, 5, v34
	v_lshlrev_b32_e32 v46, 3, v2
	v_mul_u32_u24_sdwa v2, v55, s1 dst_sel:DWORD dst_unused:UNUSED_PAD src0_sel:WORD_0 src1_sel:DWORD
	v_lshrrev_b32_e32 v37, 21, v2
	s_waitcnt lgkmcnt(0)
	s_barrier
	global_load_dwordx4 v[42:45], v46, s[8:9] offset:240
	v_mul_lo_u16_e32 v2, 36, v37
	v_sub_u16_e32 v33, v55, v2
	v_mul_u32_u24_e32 v2, 5, v33
	v_lshlrev_b32_e32 v62, 3, v2
	global_load_dwordx4 v[72:75], v62, s[8:9] offset:240
	global_load_dwordx4 v[76:79], v46, s[8:9] offset:256
	;; [unrolled: 1-line block ×3, first 2 shown]
	v_mov_b32_e32 v2, 57
	v_mul_lo_u16_sdwa v2, v68, v2 dst_sel:DWORD dst_unused:UNUSED_PAD src0_sel:BYTE_0 src1_sel:DWORD
	v_lshrrev_b16_e32 v64, 11, v2
	v_mul_lo_u16_e32 v2, 36, v64
	v_sub_u16_e32 v100, v68, v2
	v_mul_u32_u24_sdwa v2, v100, v31 dst_sel:DWORD dst_unused:UNUSED_PAD src0_sel:BYTE_0 src1_sel:DWORD
	v_lshlrev_b32_e32 v31, 3, v2
	v_mul_u32_u24_sdwa v2, v30, s1 dst_sel:DWORD dst_unused:UNUSED_PAD src0_sel:WORD_0 src1_sel:DWORD
	v_lshrrev_b32_e32 v38, 21, v2
	v_mul_lo_u16_e32 v2, 36, v38
	v_sub_u16_e32 v41, v30, v2
	global_load_dwordx4 v[84:87], v31, s[8:9] offset:240
	v_mul_u32_u24_e32 v2, 5, v41
	v_lshlrev_b32_e32 v66, 3, v2
	global_load_dwordx4 v[88:91], v66, s[8:9] offset:240
	ds_read2_b32 v[2:3], v70 offset0:80 offset1:224
	ds_read2_b32 v[48:49], v71 offset0:16 offset1:160
	global_load_dwordx4 v[92:95], v31, s[8:9] offset:256
	global_load_dwordx2 v[60:61], v31, s[8:9] offset:272
	global_load_dwordx4 v[96:99], v66, s[8:9] offset:256
	s_waitcnt vmcnt(8)
	v_mul_f32_e32 v40, v24, v43
	s_waitcnt lgkmcnt(1)
	v_mul_f32_e32 v31, v2, v43
	v_fmac_f32_e32 v40, v2, v42
	s_waitcnt lgkmcnt(0)
	v_mul_f32_e32 v2, v48, v45
	v_fma_f32 v43, v22, v44, -v2
	s_waitcnt vmcnt(7)
	v_mul_f32_e32 v2, v3, v73
	v_fma_f32 v39, v24, v42, -v31
	v_fma_f32 v31, v25, v72, -v2
	v_mul_f32_e32 v36, v25, v73
	global_load_dwordx2 v[24:25], v46, s[8:9] offset:272
	v_fmac_f32_e32 v36, v3, v72
	global_load_dwordx2 v[72:73], v62, s[8:9] offset:272
	v_mul_f32_e32 v45, v22, v45
	v_mul_f32_e32 v2, v49, v75
	v_fmac_f32_e32 v45, v48, v44
	v_fma_f32 v42, v23, v74, -v2
	v_mul_f32_e32 v44, v23, v75
	global_load_dwordx2 v[22:23], v66, s[8:9] offset:272
	ds_read2_b32 v[2:3], v67 offset0:80 offset1:224
	ds_read2_b32 v[70:71], v69 offset0:16 offset1:160
	s_waitcnt vmcnt(9)
	v_mul_f32_e32 v62, v20, v77
	s_waitcnt vmcnt(8)
	v_mul_f32_e32 v75, v21, v81
	v_fmac_f32_e32 v44, v49, v74
	s_waitcnt lgkmcnt(1)
	v_mul_f32_e32 v46, v2, v77
	v_fmac_f32_e32 v62, v2, v76
	s_waitcnt lgkmcnt(0)
	v_mul_f32_e32 v2, v70, v79
	v_fma_f32 v66, v18, v78, -v2
	v_mul_f32_e32 v2, v3, v81
	v_fma_f32 v74, v21, v80, -v2
	v_fmac_f32_e32 v75, v3, v80
	ds_read2_b32 v[2:3], v56 offset0:48 offset1:192
	v_mul_f32_e32 v67, v18, v79
	v_mul_f32_e32 v18, v71, v83
	v_fma_f32 v48, v19, v82, -v18
	v_mul_f32_e32 v49, v19, v83
	ds_read2_b32 v[18:19], v59 offset0:48 offset1:192
	v_fma_f32 v46, v20, v76, -v46
	s_waitcnt vmcnt(7) lgkmcnt(1)
	v_mul_f32_e32 v20, v3, v85
	v_fma_f32 v59, v1, v84, -v20
	v_mul_f32_e32 v69, v1, v85
	ds_read2_b32 v[20:21], v58 offset0:48 offset1:192
	v_fmac_f32_e32 v69, v3, v84
	s_waitcnt lgkmcnt(1)
	v_mul_f32_e32 v1, v19, v87
	v_mul_f32_e32 v76, v17, v87
	s_waitcnt vmcnt(6)
	v_mul_f32_e32 v3, v16, v89
	v_fmac_f32_e32 v49, v71, v82
	v_fma_f32 v71, v17, v86, -v1
	v_fmac_f32_e32 v76, v19, v86
	v_mul_f32_e32 v1, v18, v89
	v_fmac_f32_e32 v3, v18, v88
	ds_read2_b32 v[18:19], v57 offset0:48 offset1:192
	v_fma_f32 v1, v16, v88, -v1
	s_waitcnt lgkmcnt(1)
	v_mul_f32_e32 v16, v20, v91
	v_fma_f32 v16, v10, v90, -v16
	v_mul_f32_e32 v17, v10, v91
	s_waitcnt vmcnt(5)
	v_mul_f32_e32 v10, v21, v93
	v_fmac_f32_e32 v17, v20, v90
	v_fma_f32 v20, v11, v92, -v10
	v_mul_f32_e32 v57, v11, v93
	s_waitcnt lgkmcnt(0)
	v_mul_f32_e32 v10, v19, v95
	v_fmac_f32_e32 v57, v21, v92
	v_fma_f32 v21, v9, v94, -v10
	ds_read2_b32 v[10:11], v54 offset0:48 offset1:192
	v_mul_f32_e32 v77, v9, v95
	s_waitcnt vmcnt(3)
	v_mul_f32_e32 v9, v18, v97
	v_fmac_f32_e32 v67, v70, v78
	v_fmac_f32_e32 v77, v19, v94
	v_fma_f32 v19, v8, v96, -v9
	v_mul_f32_e32 v78, v8, v97
	s_waitcnt lgkmcnt(0)
	v_mul_f32_e32 v8, v10, v99
	v_fma_f32 v54, v6, v98, -v8
	ds_read2_b32 v[8:9], v53 offset0:80 offset1:224
	v_mul_f32_e32 v58, v6, v99
	v_fmac_f32_e32 v58, v10, v98
	v_mul_f32_e32 v6, v11, v61
	v_fmac_f32_e32 v78, v18, v96
	v_fma_f32 v6, v7, v60, -v6
	v_mul_f32_e32 v7, v7, v61
	v_fmac_f32_e32 v7, v11, v60
	v_add_f32_e32 v83, v3, v78
	v_add_f32_e32 v85, v40, v62
	;; [unrolled: 1-line block ×3, first 2 shown]
	v_add_u32_e32 v61, 0x1600, v52
	s_waitcnt vmcnt(2) lgkmcnt(0)
	v_mul_f32_e32 v10, v8, v25
	v_fma_f32 v10, v4, v24, -v10
	v_mul_f32_e32 v79, v4, v25
	s_waitcnt vmcnt(1)
	v_mul_f32_e32 v4, v9, v73
	v_fma_f32 v4, v5, v72, -v4
	v_mul_f32_e32 v70, v5, v73
	ds_read_b32 v5, v52 offset:13248
	v_fmac_f32_e32 v79, v8, v24
	v_fmac_f32_e32 v70, v9, v72
	s_waitcnt vmcnt(0)
	v_mul_f32_e32 v81, v32, v23
	v_add_f32_e32 v9, v16, v54
	s_waitcnt lgkmcnt(0)
	v_mul_f32_e32 v8, v5, v23
	v_fma_f32 v8, v32, v22, -v8
	v_fmac_f32_e32 v81, v5, v22
	v_add_f32_e32 v5, v0, v16
	v_fmac_f32_e32 v0, -0.5, v9
	v_sub_f32_e32 v9, v17, v58
	v_add_f32_e32 v18, v19, v8
	v_fmamk_f32 v11, v9, 0x3f5db3d7, v0
	v_fmac_f32_e32 v0, 0xbf5db3d7, v9
	v_add_f32_e32 v9, v1, v19
	v_fmac_f32_e32 v1, -0.5, v18
	v_sub_f32_e32 v18, v78, v81
	v_fmamk_f32 v82, v18, 0x3f5db3d7, v1
	v_fmac_f32_e32 v1, 0xbf5db3d7, v18
	v_add_f32_e32 v18, v78, v81
	v_fmac_f32_e32 v3, -0.5, v18
	v_sub_f32_e32 v18, v19, v8
	v_fmamk_f32 v78, v18, 0xbf5db3d7, v3
	v_fmac_f32_e32 v3, 0x3f5db3d7, v18
	v_mul_f32_e32 v18, -0.5, v1
	v_fmac_f32_e32 v18, 0x3f5db3d7, v3
	v_add_f32_e32 v22, v71, v21
	v_add_f32_e32 v19, v0, v18
	v_sub_f32_e32 v0, v0, v18
	v_add_f32_e32 v18, v29, v71
	v_fmac_f32_e32 v29, -0.5, v22
	v_add_f32_e32 v22, v59, v20
	v_add_f32_e32 v23, v20, v6
	;; [unrolled: 1-line block ×3, first 2 shown]
	v_fmac_f32_e32 v59, -0.5, v23
	v_add_f32_e32 v23, v69, v57
	v_fmac_f32_e32 v69, -0.5, v24
	v_add_f32_e32 v22, v22, v6
	v_sub_f32_e32 v6, v20, v6
	v_lshlrev_b32_sdwa v20, v26, v100 dst_sel:DWORD dst_unused:UNUSED_PAD src0_sel:DWORD src1_sel:BYTE_0
	v_mul_u32_u24_e32 v24, 0x360, v64
	v_add3_u32 v84, 0, v24, v20
	v_sub_f32_e32 v20, v57, v7
	v_add_f32_e32 v18, v18, v21
	v_fmamk_f32 v24, v20, 0x3f5db3d7, v59
	v_fmac_f32_e32 v59, 0xbf5db3d7, v20
	v_fmamk_f32 v25, v6, 0xbf5db3d7, v69
	v_sub_f32_e32 v32, v76, v77
	v_add_f32_e32 v57, v18, v22
	v_fmac_f32_e32 v69, 0x3f5db3d7, v6
	v_sub_f32_e32 v6, v18, v22
	v_mul_f32_e32 v18, -0.5, v59
	v_mul_f32_e32 v26, 0x3f5db3d7, v25
	v_fmamk_f32 v53, v32, 0x3f5db3d7, v29
	v_fmac_f32_e32 v29, 0xbf5db3d7, v32
	v_fmac_f32_e32 v18, 0x3f5db3d7, v69
	v_fmac_f32_e32 v26, 0.5, v24
	v_add_f32_e32 v20, v29, v18
	ds_read_b32 v72, v51
	ds_read_b32 v73, v50
	;; [unrolled: 1-line block ×3, first 2 shown]
	s_waitcnt lgkmcnt(0)
	s_barrier
	ds_write2_b32 v84, v20, v6 offset0:72 offset1:108
	v_sub_f32_e32 v6, v53, v26
	v_sub_f32_e32 v18, v29, v18
	ds_write2_b32 v84, v6, v18 offset0:144 offset1:180
	v_add_f32_e32 v18, v43, v66
	v_add_f32_e32 v20, v46, v10
	;; [unrolled: 1-line block ×3, first 2 shown]
	v_fmac_f32_e32 v28, -0.5, v18
	v_add_f32_e32 v18, v39, v46
	v_fmac_f32_e32 v39, -0.5, v20
	v_add_f32_e32 v20, v62, v79
	v_fmac_f32_e32 v40, -0.5, v20
	v_perm_b32 v20, v37, v35, s0
	s_movk_i32 s0, 0x360
	v_pk_mul_lo_u16 v20, v20, s0 op_sel_hi:[1,0]
	v_add_f32_e32 v60, v53, v26
	v_lshlrev_b32_e32 v22, 2, v34
	v_and_b32_e32 v26, 0xffe0, v20
	v_add3_u32 v34, 0, v26, v22
	v_sub_f32_e32 v22, v62, v79
	v_add_f32_e32 v18, v18, v10
	v_sub_f32_e32 v10, v46, v10
	v_fmamk_f32 v35, v22, 0x3f5db3d7, v39
	v_fmac_f32_e32 v39, 0xbf5db3d7, v22
	v_fmamk_f32 v86, v10, 0xbf5db3d7, v40
	v_sub_f32_e32 v29, v45, v67
	v_fmac_f32_e32 v40, 0x3f5db3d7, v10
	v_mul_f32_e32 v10, -0.5, v39
	v_add_f32_e32 v6, v6, v66
	v_mul_f32_e32 v26, 0x3f5db3d7, v86
	v_fmamk_f32 v32, v29, 0x3f5db3d7, v28
	v_fmac_f32_e32 v28, 0xbf5db3d7, v29
	v_fmac_f32_e32 v10, 0x3f5db3d7, v40
	v_fmac_f32_e32 v26, 0.5, v35
	v_add_f32_e32 v37, v6, v18
	v_sub_f32_e32 v6, v6, v18
	v_add_f32_e32 v18, v28, v10
	ds_write2_b32 v84, v57, v60 offset1:36
	ds_write2_b32 v34, v18, v6 offset0:72 offset1:108
	v_sub_f32_e32 v6, v32, v26
	v_sub_f32_e32 v10, v28, v10
	ds_write2_b32 v34, v6, v10 offset0:144 offset1:180
	v_add_f32_e32 v10, v42, v48
	v_add_f32_e32 v18, v74, v4
	;; [unrolled: 1-line block ×3, first 2 shown]
	v_fmac_f32_e32 v27, -0.5, v10
	v_add_f32_e32 v10, v31, v74
	v_fmac_f32_e32 v31, -0.5, v18
	v_add_f32_e32 v18, v75, v70
	v_fmac_f32_e32 v36, -0.5, v18
	v_lshrrev_b32_e32 v18, 16, v20
	v_lshlrev_b32_e32 v20, 2, v33
	v_add3_u32 v33, 0, v18, v20
	v_sub_f32_e32 v18, v75, v70
	v_add_f32_e32 v10, v10, v4
	v_sub_f32_e32 v4, v74, v4
	v_add_f32_e32 v6, v6, v48
	v_fmamk_f32 v74, v18, 0x3f5db3d7, v31
	v_fmac_f32_e32 v31, 0xbf5db3d7, v18
	v_fmamk_f32 v75, v4, 0xbf5db3d7, v36
	v_sub_f32_e32 v22, v44, v49
	v_add_f32_e32 v28, v6, v10
	v_fmac_f32_e32 v36, 0x3f5db3d7, v4
	v_sub_f32_e32 v4, v6, v10
	v_mul_f32_e32 v6, -0.5, v31
	v_add_f32_e32 v46, v32, v26
	v_mul_f32_e32 v20, 0x3f5db3d7, v75
	v_fmamk_f32 v26, v22, 0x3f5db3d7, v27
	v_fmac_f32_e32 v27, 0xbf5db3d7, v22
	v_fmac_f32_e32 v6, 0x3f5db3d7, v36
	v_fmac_f32_e32 v20, 0.5, v74
	v_add_f32_e32 v10, v27, v6
	ds_write2_b32 v34, v37, v46 offset1:36
	ds_write2_b32 v33, v10, v4 offset0:72 offset1:108
	v_sub_f32_e32 v4, v26, v20
	v_sub_f32_e32 v6, v27, v6
	ds_write2_b32 v33, v4, v6 offset0:144 offset1:180
	v_add_f32_e32 v4, v9, v8
	v_mul_u32_u24_e32 v6, 0x360, v38
	v_lshlrev_b32_e32 v8, 2, v41
	v_add3_u32 v88, 0, v6, v8
	v_mul_f32_e32 v6, 0x3f5db3d7, v78
	v_add_f32_e32 v5, v5, v54
	v_fmac_f32_e32 v6, 0.5, v82
	v_add_f32_e32 v29, v26, v20
	v_add_f32_e32 v8, v5, v4
	;; [unrolled: 1-line block ×3, first 2 shown]
	ds_write2_b32 v33, v28, v29 offset1:36
	ds_write2_b32 v88, v8, v9 offset1:36
	v_add_f32_e32 v8, v80, v76
	v_add_f32_e32 v89, v8, v77
	;; [unrolled: 1-line block ×3, first 2 shown]
	v_fmac_f32_e32 v80, -0.5, v8
	v_sub_f32_e32 v71, v71, v21
	v_sub_f32_e32 v4, v5, v4
	v_mul_f32_e32 v69, -0.5, v69
	v_add_f32_e32 v76, v23, v7
	v_mul_f32_e32 v77, 0xbf5db3d7, v24
	v_sub_f32_e32 v5, v11, v6
	ds_write2_b32 v88, v19, v4 offset0:72 offset1:108
	ds_write2_b32 v88, v5, v0 offset0:144 offset1:180
	v_fmamk_f32 v0, v71, 0xbf5db3d7, v80
	v_fmac_f32_e32 v80, 0x3f5db3d7, v71
	v_fmac_f32_e32 v69, 0xbf5db3d7, v59
	v_fmac_f32_e32 v77, 0.5, v25
	v_sub_f32_e32 v59, v89, v76
	v_add_f32_e32 v71, v80, v69
	s_waitcnt lgkmcnt(0)
	s_barrier
	ds_read_b32 v90, v52
	v_add_u32_e32 v46, 0xc00, v52
	v_add_u32_e32 v57, 0x1a00, v52
	;; [unrolled: 1-line block ×8, first 2 shown]
	v_lshl_add_u32 v64, v68, 2, 0
	ds_read_b32 v91, v51
	ds_read_b32 v92, v50
	ds_read_b32 v32, v64 offset:2880
	ds_read2_b32 v[28:29], v46 offset0:96 offset1:240
	ds_read2_b32 v[26:27], v57 offset0:64 offset1:208
	;; [unrolled: 1-line block ×3, first 2 shown]
	ds_read2_b32 v[24:25], v41 offset1:144
	ds_read2_b32 v[22:23], v37 offset0:96 offset1:240
	ds_read2_b32 v[8:9], v62 offset0:64 offset1:208
	;; [unrolled: 1-line block ×4, first 2 shown]
	ds_read2_b32 v[18:19], v38 offset1:144
	ds_read2_b32 v[6:7], v53 offset0:96 offset1:240
	s_waitcnt lgkmcnt(0)
	s_barrier
	v_add_f32_e32 v94, v0, v77
	ds_write2_b32 v84, v71, v59 offset0:72 offset1:108
	v_sub_f32_e32 v0, v0, v77
	v_sub_f32_e32 v59, v80, v69
	ds_write2_b32 v84, v0, v59 offset0:144 offset1:180
	v_add_f32_e32 v0, v73, v45
	v_add_f32_e32 v45, v45, v67
	v_fmac_f32_e32 v73, -0.5, v45
	v_sub_f32_e32 v43, v43, v66
	v_mul_f32_e32 v40, -0.5, v40
	v_add_f32_e32 v0, v0, v67
	v_add_f32_e32 v45, v85, v79
	v_mul_f32_e32 v35, 0xbf5db3d7, v35
	v_fmamk_f32 v59, v43, 0xbf5db3d7, v73
	v_fmac_f32_e32 v73, 0x3f5db3d7, v43
	v_fmac_f32_e32 v40, 0xbf5db3d7, v39
	v_add_f32_e32 v93, v89, v76
	v_fmac_f32_e32 v35, 0.5, v86
	v_add_f32_e32 v66, v0, v45
	v_sub_f32_e32 v0, v0, v45
	v_add_f32_e32 v39, v73, v40
	ds_write2_b32 v84, v93, v94 offset1:36
	v_add_f32_e32 v67, v59, v35
	ds_write2_b32 v34, v39, v0 offset0:72 offset1:108
	v_sub_f32_e32 v0, v59, v35
	v_sub_f32_e32 v35, v73, v40
	ds_write2_b32 v34, v66, v67 offset1:36
	ds_write2_b32 v34, v0, v35 offset0:144 offset1:180
	v_add_f32_e32 v34, v44, v49
	v_add_f32_e32 v0, v72, v44
	v_fmac_f32_e32 v72, -0.5, v34
	v_sub_f32_e32 v34, v42, v48
	v_mul_f32_e32 v39, 0xbf5db3d7, v74
	v_add_f32_e32 v40, v2, v17
	v_add_f32_e32 v17, v17, v58
	;; [unrolled: 1-line block ×3, first 2 shown]
	v_fmamk_f32 v35, v34, 0xbf5db3d7, v72
	v_fmac_f32_e32 v72, 0x3f5db3d7, v34
	v_add_f32_e32 v34, v87, v70
	v_fmac_f32_e32 v39, 0.5, v75
	v_mul_f32_e32 v36, -0.5, v36
	v_fmac_f32_e32 v2, -0.5, v17
	v_sub_f32_e32 v16, v16, v54
	v_mul_f32_e32 v42, 0xbf5db3d7, v82
	v_mul_f32_e32 v3, -0.5, v3
	v_fmac_f32_e32 v36, 0xbf5db3d7, v31
	v_add_f32_e32 v31, v0, v34
	v_sub_f32_e32 v0, v0, v34
	v_add_f32_e32 v34, v35, v39
	v_add_f32_e32 v40, v40, v58
	v_fmamk_f32 v17, v16, 0xbf5db3d7, v2
	v_fmac_f32_e32 v2, 0x3f5db3d7, v16
	v_add_f32_e32 v16, v83, v81
	v_fmac_f32_e32 v42, 0.5, v78
	v_fmac_f32_e32 v3, 0xbf5db3d7, v1
	v_sub_f32_e32 v35, v35, v39
	v_add_f32_e32 v39, v72, v36
	v_sub_f32_e32 v36, v72, v36
	v_add_f32_e32 v1, v40, v16
	;; [unrolled: 2-line block ×4, first 2 shown]
	v_sub_f32_e32 v2, v2, v3
	ds_write2_b32 v33, v31, v34 offset1:36
	ds_write2_b32 v33, v39, v0 offset0:72 offset1:108
	ds_write2_b32 v33, v35, v36 offset0:144 offset1:180
	ds_write2_b32 v88, v1, v40 offset1:36
	ds_write2_b32 v88, v42, v16 offset0:72 offset1:108
	ds_write2_b32 v88, v17, v2 offset0:144 offset1:180
	v_mul_u32_u24_e32 v0, 3, v68
	s_movk_i32 s0, 0x48
	v_lshlrev_b32_e32 v0, 3, v0
	v_add_u32_e32 v1, 0xffffffb8, v68
	v_cmp_gt_u32_e64 s[0:1], s0, v68
	s_waitcnt lgkmcnt(0)
	s_barrier
	global_load_dwordx4 v[42:45], v0, s[8:9] offset:1680
	v_cndmask_b32_e64 v1, v1, v47, s[0:1]
	v_mov_b32_e32 v17, 0
	v_lshl_add_u32 v16, v1, 1, v1
	v_lshl_add_u64 v[2:3], v[16:17], 3, s[8:9]
	global_load_dwordx4 v[70:73], v[2:3], off offset:1680
	global_load_dwordx4 v[74:77], v0, s[8:9] offset:3408
	v_lshrrev_b16_e32 v16, 3, v30
	v_mul_u32_u24_e32 v16, 0x12f7, v16
	v_lshrrev_b32_e32 v16, 17, v16
	v_mul_lo_u16_e32 v16, 0xd8, v16
	v_sub_u16_e32 v16, v30, v16
	v_mul_u32_u24_e32 v30, 3, v16
	v_lshlrev_b32_e32 v33, 3, v30
	v_add_u16_e32 v30, 0x240, v68
	v_lshrrev_b16_e32 v31, 3, v30
	v_mul_u32_u24_e32 v31, 0x12f7, v31
	v_lshrrev_b32_e32 v36, 17, v31
	v_mul_lo_u16_e32 v31, 0xd8, v36
	ds_read2_b32 v[34:35], v46 offset0:96 offset1:240
	ds_read2_b32 v[48:49], v57 offset0:64 offset1:208
	global_load_dwordx4 v[78:81], v33, s[8:9] offset:1680
	v_sub_u16_e32 v40, v30, v31
	v_mul_u32_u24_e32 v30, 3, v40
	v_add_u32_e32 v39, 0x2d0, v68
	v_lshlrev_b32_e32 v54, 3, v30
	global_load_dwordx4 v[82:85], v54, s[8:9] offset:1680
	v_lshrrev_b16_e32 v30, 3, v39
	v_mul_u32_u24_e32 v30, 0x12f7, v30
	v_lshrrev_b32_e32 v30, 17, v30
	v_mul_lo_u16_e32 v30, 0xd8, v30
	v_sub_u16_e32 v58, v39, v30
	v_mul_u32_u24_e32 v30, 3, v58
	v_lshlrev_b32_e32 v59, 3, v30
	global_load_dwordx4 v[86:89], v59, s[8:9] offset:1680
	global_load_dwordx2 v[30:31], v0, s[8:9] offset:1696
	s_movk_i32 s0, 0x47
	global_load_dwordx2 v[2:3], v[2:3], off offset:1696
	v_cmp_lt_u32_e64 s[0:1], s0, v68
	v_lshlrev_b32_e32 v1, 2, v1
	v_lshl_add_u32 v16, v16, 2, 0
	s_waitcnt vmcnt(7) lgkmcnt(1)
	v_mul_f32_e32 v66, v34, v43
	v_fma_f32 v66, v28, v42, -v66
	v_mul_f32_e32 v67, v28, v43
	s_waitcnt lgkmcnt(0)
	v_mul_f32_e32 v28, v48, v45
	v_fma_f32 v69, v26, v44, -v28
	v_mul_f32_e32 v93, v26, v45
	s_waitcnt vmcnt(6)
	v_mul_f32_e32 v26, v35, v71
	v_fma_f32 v94, v29, v70, -v26
	v_mul_f32_e32 v71, v29, v71
	ds_read2_b32 v[28:29], v41 offset1:144
	v_mul_f32_e32 v26, v49, v73
	v_fmac_f32_e32 v71, v35, v70
	v_fma_f32 v70, v27, v72, -v26
	v_mul_f32_e32 v73, v27, v73
	global_load_dwordx2 v[26:27], v0, s[8:9] offset:3424
	v_fmac_f32_e32 v67, v34, v42
	s_waitcnt vmcnt(6) lgkmcnt(0)
	v_mul_f32_e32 v42, v28, v75
	v_fmac_f32_e32 v73, v49, v72
	v_fma_f32 v72, v24, v74, -v42
	global_load_dwordx2 v[42:43], v33, s[8:9] offset:1696
	v_fmac_f32_e32 v93, v48, v44
	global_load_dwordx2 v[44:45], v54, s[8:9] offset:1696
	global_load_dwordx2 v[48:49], v59, s[8:9] offset:1696
	ds_read2_b32 v[34:35], v37 offset0:96 offset1:240
	v_mul_f32_e32 v75, v24, v75
	v_fmac_f32_e32 v75, v28, v74
	v_mul_f32_e32 v74, v22, v77
	s_waitcnt vmcnt(8)
	v_mul_f32_e32 v59, v25, v79
	s_waitcnt lgkmcnt(0)
	v_mul_f32_e32 v24, v34, v77
	v_fma_f32 v28, v22, v76, -v24
	v_mul_f32_e32 v22, v29, v79
	v_fma_f32 v33, v25, v78, -v22
	v_mul_f32_e32 v22, v35, v81
	ds_read2_b32 v[24:25], v61 offset0:32 offset1:176
	v_fmac_f32_e32 v74, v34, v76
	v_fmac_f32_e32 v59, v29, v78
	v_fma_f32 v29, v23, v80, -v22
	v_mul_f32_e32 v76, v23, v81
	ds_read2_b32 v[22:23], v38 offset1:144
	s_waitcnt vmcnt(7) lgkmcnt(1)
	v_mul_f32_e32 v34, v24, v83
	v_fma_f32 v34, v20, v82, -v34
	v_mul_f32_e32 v77, v20, v83
	v_fmac_f32_e32 v77, v24, v82
	s_waitcnt lgkmcnt(0)
	v_mul_f32_e32 v20, v22, v85
	v_fma_f32 v24, v18, v84, -v20
	v_mul_f32_e32 v78, v18, v85
	s_waitcnt vmcnt(6)
	v_mul_f32_e32 v18, v25, v87
	v_fmac_f32_e32 v78, v22, v84
	v_fma_f32 v22, v21, v86, -v18
	v_mul_f32_e32 v79, v21, v87
	ds_read2_b32 v[20:21], v60 offset0:32 offset1:176
	v_mul_f32_e32 v18, v23, v89
	v_fmac_f32_e32 v76, v35, v80
	v_fmac_f32_e32 v79, v25, v86
	v_fma_f32 v25, v19, v88, -v18
	v_mul_f32_e32 v80, v19, v89
	s_waitcnt vmcnt(5) lgkmcnt(0)
	v_mul_f32_e32 v18, v20, v31
	v_fmac_f32_e32 v80, v23, v88
	v_fma_f32 v23, v10, v30, -v18
	ds_read2_b32 v[18:19], v62 offset0:64 offset1:208
	v_mul_f32_e32 v10, v10, v31
	v_fmac_f32_e32 v10, v20, v30
	s_waitcnt vmcnt(4)
	v_mul_f32_e32 v20, v21, v3
	v_fma_f32 v20, v11, v2, -v20
	v_mul_f32_e32 v11, v11, v3
	v_fmac_f32_e32 v11, v21, v2
	v_sub_f32_e32 v23, v66, v23
	v_sub_f32_e32 v10, v67, v10
	v_add_u32_e32 v82, 0x680, v52
	v_sub_f32_e32 v11, v71, v11
	v_add_u32_e32 v84, 0x1500, v64
	v_add_u32_e32 v85, 0x1b00, v16
	s_waitcnt vmcnt(3) lgkmcnt(0)
	v_mul_f32_e32 v2, v18, v27
	v_fma_f32 v21, v8, v26, -v2
	ds_read2_b32 v[2:3], v53 offset0:96 offset1:240
	v_mul_f32_e32 v8, v8, v27
	v_fmac_f32_e32 v8, v18, v26
	s_waitcnt vmcnt(2)
	v_mul_f32_e32 v18, v19, v43
	v_fma_f32 v18, v9, v42, -v18
	v_mul_f32_e32 v9, v9, v43
	v_fmac_f32_e32 v9, v19, v42
	s_waitcnt vmcnt(1) lgkmcnt(0)
	v_mul_f32_e32 v19, v2, v45
	v_fma_f32 v19, v6, v44, -v19
	v_mul_f32_e32 v6, v6, v45
	v_fmac_f32_e32 v6, v2, v44
	s_waitcnt vmcnt(0)
	v_mul_f32_e32 v2, v3, v49
	v_fma_f32 v26, v7, v48, -v2
	v_mul_f32_e32 v7, v7, v49
	v_sub_f32_e32 v2, v90, v69
	v_fmac_f32_e32 v7, v3, v48
	v_fma_f32 v3, v90, 2.0, -v2
	v_fma_f32 v27, v66, 2.0, -v23
	v_sub_f32_e32 v27, v3, v27
	v_sub_f32_e32 v31, v2, v10
	v_fma_f32 v30, v3, 2.0, -v27
	v_fma_f32 v35, v2, 2.0, -v31
	ds_read_b32 v42, v52
	ds_read_b32 v66, v51
	;; [unrolled: 1-line block ×3, first 2 shown]
	ds_read_b32 v81, v64 offset:2880
	ds_read2_b32 v[2:3], v56 offset0:48 offset1:192
	s_waitcnt lgkmcnt(0)
	s_barrier
	ds_write2_b32 v82, v27, v31 offset0:16 offset1:232
	v_mov_b32_e32 v27, 0xd80
	v_cndmask_b32_e64 v27, 0, v27, s[0:1]
	v_add3_u32 v1, 0, v27, v1
	v_sub_f32_e32 v27, v92, v70
	v_sub_f32_e32 v70, v94, v20
	ds_write2_b32 v52, v30, v35 offset1:216
	v_fma_f32 v30, v92, 2.0, -v27
	v_fma_f32 v20, v94, 2.0, -v70
	v_sub_f32_e32 v20, v30, v20
	v_sub_f32_e32 v31, v27, v11
	v_add_u32_e32 v83, 0x680, v1
	v_fma_f32 v30, v30, 2.0, -v20
	v_fma_f32 v27, v27, 2.0, -v31
	ds_write2_b32 v83, v20, v31 offset0:16 offset1:232
	v_sub_f32_e32 v20, v91, v28
	v_sub_f32_e32 v28, v72, v21
	ds_write2_b32 v1, v30, v27 offset1:216
	v_fma_f32 v27, v91, 2.0, -v20
	v_sub_f32_e32 v8, v75, v8
	v_fma_f32 v21, v72, 2.0, -v28
	v_sub_f32_e32 v21, v27, v21
	v_sub_f32_e32 v30, v20, v8
	v_fma_f32 v27, v27, 2.0, -v21
	v_fma_f32 v20, v20, 2.0, -v30
	v_add_u32_e32 v72, 0xe80, v64
	ds_write2_b32 v72, v27, v20 offset0:8 offset1:224
	v_sub_f32_e32 v20, v4, v29
	v_sub_f32_e32 v29, v33, v18
	;; [unrolled: 1-line block ×3, first 2 shown]
	v_fma_f32 v18, v33, 2.0, -v29
	v_fma_f32 v4, v4, 2.0, -v20
	ds_write2_b32 v84, v21, v30 offset0:24 offset1:240
	v_sub_f32_e32 v18, v4, v18
	v_sub_f32_e32 v21, v20, v9
	v_fma_f32 v4, v4, 2.0, -v18
	v_fma_f32 v20, v20, 2.0, -v21
	ds_write2_b32 v85, v4, v20 offset1:216
	v_add_u32_e32 v4, 0x2180, v16
	ds_write2_b32 v4, v18, v21 offset0:16 offset1:232
	v_sub_f32_e32 v16, v5, v24
	v_mul_u32_u24_e32 v18, 0xd80, v36
	v_lshlrev_b32_e32 v20, 2, v40
	v_sub_f32_e32 v19, v34, v19
	v_fma_f32 v5, v5, 2.0, -v16
	v_add3_u32 v86, 0, v18, v20
	v_sub_f32_e32 v6, v77, v6
	v_fma_f32 v18, v34, 2.0, -v19
	v_sub_f32_e32 v18, v5, v18
	v_sub_f32_e32 v20, v16, v6
	v_fma_f32 v5, v5, 2.0, -v18
	v_fma_f32 v16, v16, 2.0, -v20
	ds_write2_b32 v86, v5, v16 offset1:216
	v_add_u32_e32 v5, 0x680, v86
	v_sub_f32_e32 v16, v32, v25
	v_sub_f32_e32 v87, v22, v26
	ds_write2_b32 v5, v18, v20 offset0:16 offset1:232
	v_fma_f32 v18, v32, 2.0, -v16
	v_sub_f32_e32 v7, v79, v7
	v_fma_f32 v20, v22, 2.0, -v87
	v_sub_f32_e32 v20, v18, v20
	v_sub_f32_e32 v21, v16, v7
	v_lshl_add_u32 v22, v58, 2, 0
	v_fma_f32 v18, v18, 2.0, -v20
	v_fma_f32 v16, v16, 2.0, -v21
	v_add_u32_e32 v58, 0x2800, v22
	v_fma_f32 v10, v67, 2.0, -v10
	v_sub_f32_e32 v67, v42, v93
	ds_write2_b32 v58, v18, v16 offset0:32 offset1:248
	v_add_u32_e32 v16, 0x2f00, v22
	v_fma_f32 v88, v42, 2.0, -v67
	ds_write2_b32 v16, v20, v21 offset0:16 offset1:232
	v_sub_f32_e32 v10, v88, v10
	v_add_f32_e32 v89, v67, v23
	s_waitcnt lgkmcnt(0)
	s_barrier
	ds_read2_b32 v[30:31], v37 offset0:96 offset1:240
	ds_read2_b32 v[26:27], v56 offset0:48 offset1:192
	ds_read2_b32 v[22:23], v38 offset1:144
	ds_read_b32 v54, v52
	ds_read2_b32 v[42:43], v46 offset0:96 offset1:240
	ds_read2_b32 v[48:49], v57 offset0:64 offset1:208
	;; [unrolled: 1-line block ×3, first 2 shown]
	ds_read2_b32 v[32:33], v41 offset1:144
	ds_read2_b32 v[34:35], v62 offset0:64 offset1:208
	ds_read2_b32 v[20:21], v61 offset0:32 offset1:176
	;; [unrolled: 1-line block ×3, first 2 shown]
	ds_read_b32 v36, v51
	ds_read_b32 v40, v50
	ds_read_b32 v18, v64 offset:2880
	s_waitcnt lgkmcnt(0)
	s_barrier
	ds_write2_b32 v82, v10, v89 offset0:16 offset1:232
	v_fma_f32 v10, v88, 2.0, -v10
	v_fma_f32 v50, v67, 2.0, -v89
	ds_write2_b32 v52, v10, v50 offset1:216
	v_fma_f32 v10, v71, 2.0, -v11
	v_sub_f32_e32 v11, v69, v73
	v_fma_f32 v50, v69, 2.0, -v11
	v_sub_f32_e32 v10, v50, v10
	v_add_f32_e32 v51, v11, v70
	v_fma_f32 v50, v50, 2.0, -v10
	v_fma_f32 v11, v11, 2.0, -v51
	ds_write2_b32 v1, v50, v11 offset1:216
	ds_write2_b32 v83, v10, v51 offset0:16 offset1:232
	v_fma_f32 v1, v75, 2.0, -v8
	v_sub_f32_e32 v8, v66, v74
	v_fma_f32 v10, v66, 2.0, -v8
	v_sub_f32_e32 v1, v10, v1
	v_add_f32_e32 v11, v8, v28
	v_fma_f32 v10, v10, 2.0, -v1
	v_fma_f32 v8, v8, 2.0, -v11
	ds_write2_b32 v72, v10, v8 offset0:8 offset1:224
	ds_write2_b32 v84, v1, v11 offset0:24 offset1:240
	v_sub_f32_e32 v8, v2, v76
	v_fma_f32 v1, v59, 2.0, -v9
	v_fma_f32 v2, v2, 2.0, -v8
	v_sub_f32_e32 v1, v2, v1
	v_add_f32_e32 v9, v8, v29
	v_fma_f32 v2, v2, 2.0, -v1
	v_fma_f32 v8, v8, 2.0, -v9
	ds_write2_b32 v85, v2, v8 offset1:216
	v_sub_f32_e32 v2, v3, v78
	v_sub_f32_e32 v10, v81, v80
	v_fma_f32 v3, v3, 2.0, -v2
	v_fma_f32 v6, v77, 2.0, -v6
	v_fma_f32 v11, v81, 2.0, -v10
	v_fma_f32 v7, v79, 2.0, -v7
	v_sub_f32_e32 v6, v3, v6
	v_add_f32_e32 v8, v2, v19
	v_sub_f32_e32 v7, v11, v7
	v_add_f32_e32 v19, v10, v87
	v_fma_f32 v3, v3, 2.0, -v6
	v_fma_f32 v2, v2, 2.0, -v8
	;; [unrolled: 1-line block ×4, first 2 shown]
	ds_write2_b32 v4, v1, v9 offset0:16 offset1:232
	ds_write2_b32 v86, v3, v2 offset1:216
	ds_write2_b32 v5, v6, v8 offset0:16 offset1:232
	ds_write2_b32 v58, v11, v10 offset0:32 offset1:248
	;; [unrolled: 1-line block ×3, first 2 shown]
	s_waitcnt lgkmcnt(0)
	s_barrier
	s_and_saveexec_b64 s[0:1], vcc
	s_cbranch_execz .LBB0_15
; %bb.14:
	v_mov_b32_e32 v1, v17
	v_lshl_add_u64 v[4:5], s[8:9], 0, v[0:1]
	v_mul_u32_u24_e32 v0, 3, v39
	v_lshlrev_b32_e32 v16, 3, v0
	v_lshl_add_u64 v[0:1], s[8:9], 0, v[16:17]
	s_movk_i32 s10, 0x1000
	s_mov_b64 s[0:1], 0x1ad0
	v_add_co_u32_e32 v8, vcc, s10, v0
	v_lshl_add_u64 v[6:7], v[0:1], 0, s[0:1]
	s_nop 0
	v_addc_co_u32_e32 v9, vcc, 0, v1, vcc
	global_load_dwordx4 v[0:3], v[8:9], off offset:2768
	global_load_dwordx2 v[28:29], v[6:7], off offset:16
	v_add_co_u32_e32 v6, vcc, s10, v4
	v_mul_i32_i24_e32 v69, 0xffffffec, v47
	s_nop 0
	v_addc_co_u32_e32 v7, vcc, 0, v5, vcc
	global_load_dwordx4 v[70:73], v[6:7], off offset:2768
	v_lshl_add_u64 v[4:5], v[4:5], 0, s[0:1]
	global_load_dwordx2 v[66:67], v[4:5], off offset:16
	v_mov_b32_e32 v6, 0xfffffe50
	v_mad_u32_u24 v16, v39, 3, v6
	v_lshl_add_u64 v[4:5], v[16:17], 3, s[8:9]
	v_add_co_u32_e32 v10, vcc, s10, v4
	v_lshl_add_u64 v[8:9], v[4:5], 0, s[0:1]
	s_nop 0
	v_addc_co_u32_e32 v11, vcc, 0, v5, vcc
	global_load_dwordx4 v[4:7], v[10:11], off offset:2768
	global_load_dwordx2 v[50:51], v[8:9], off offset:16
	v_mov_b32_e32 v8, 0xfffffca0
	v_mad_u32_u24 v16, v39, 3, v8
	v_lshl_add_u64 v[8:9], v[16:17], 3, s[8:9]
	v_add_co_u32_e32 v76, vcc, s10, v8
	v_mul_u32_u24_e32 v16, 3, v55
	v_lshl_add_u64 v[74:75], v[8:9], 0, s[0:1]
	v_addc_co_u32_e32 v77, vcc, 0, v9, vcc
	v_lshlrev_b32_e32 v16, 3, v16
	global_load_dwordx4 v[8:11], v[76:77], off offset:2768
	global_load_dwordx2 v[58:59], v[74:75], off offset:16
	v_lshl_add_u64 v[74:75], s[8:9], 0, v[16:17]
	v_add_co_u32_e32 v80, vcc, s10, v74
	v_mul_u32_u24_e32 v16, 3, v47
	v_lshl_add_u64 v[78:79], v[74:75], 0, s[0:1]
	v_addc_co_u32_e32 v81, vcc, 0, v75, vcc
	v_lshlrev_b32_e32 v16, 3, v16
	global_load_dwordx4 v[74:77], v[80:81], off offset:2768
	global_load_dwordx2 v[82:83], v[78:79], off offset:16
	v_lshl_add_u64 v[78:79], s[8:9], 0, v[16:17]
	v_add_co_u32_e32 v86, vcc, s10, v78
	v_lshl_add_u64 v[84:85], v[78:79], 0, s[0:1]
	s_nop 0
	v_addc_co_u32_e32 v87, vcc, 0, v79, vcc
	global_load_dwordx4 v[78:81], v[86:87], off offset:2768
	global_load_dwordx2 v[88:89], v[84:85], off offset:16
	v_mul_i32_i24_e32 v98, 0xffffffec, v55
	v_mul_lo_u32 v16, s3, v14
	v_mul_lo_u32 v47, s2, v15
	v_mad_u64_u32 v[84:85], s[0:1], s2, v14, 0
	ds_read2_b32 v[38:39], v38 offset1:144
	ds_read2_b32 v[14:15], v61 offset0:32 offset1:176
	ds_read2_b32 v[86:87], v57 offset0:64 offset1:208
	;; [unrolled: 1-line block ×4, first 2 shown]
	ds_read_b32 v19, v64 offset:2880
	ds_read_b32 v55, v52
	v_lshrrev_b32_e32 v46, 5, v68
	s_mov_b32 s0, 0x97b425f
	v_add3_u32 v85, v85, v47, v16
	v_mul_hi_u32 v16, v46, s0
	v_mul_u32_u24_e32 v16, 0x360, v16
	v_lshl_add_u64 v[46:47], v[84:85], 3, s[6:7]
	v_sub_u32_e32 v16, v68, v16
	v_lshl_add_u64 v[46:47], v[12:13], 3, v[46:47]
	v_lshlrev_b32_e32 v16, 3, v16
	v_lshl_add_u64 v[84:85], v[46:47], 0, v[16:17]
	v_add_co_u32_e32 v96, vcc, s10, v84
	v_add_u32_e32 v16, v65, v98
	s_nop 0
	v_addc_co_u32_e32 v97, vcc, 0, v85, vcc
	s_movk_i32 s1, 0x5000
	s_waitcnt vmcnt(11)
	v_mov_b32_e32 v12, v3
	s_waitcnt vmcnt(10)
	v_mov_b32_e32 v13, v28
	s_waitcnt vmcnt(9) lgkmcnt(4)
	v_pk_mul_f32 v[60:61], v[72:73], v[86:87] op_sel_hi:[1,0]
	s_nop 0
	v_pk_fma_f32 v[94:95], v[48:49], v[72:73], v[60:61] op_sel:[0,0,1] op_sel_hi:[1,1,0] neg_lo:[0,0,1] neg_hi:[0,0,1]
	v_pk_fma_f32 v[60:61], v[48:49], v[72:73], v[60:61] op_sel:[0,0,1] op_sel_hi:[0,1,0]
	v_mov_b32_e32 v95, v61
	s_waitcnt lgkmcnt(3)
	v_pk_mul_f32 v[60:61], v[70:71], v[90:91] op_sel_hi:[1,0]
	s_waitcnt lgkmcnt(0)
	v_pk_add_f32 v[72:73], v[54:55], v[94:95] neg_lo:[0,1] neg_hi:[0,1]
	v_pk_fma_f32 v[94:95], v[42:43], v[70:71], v[60:61] op_sel:[0,0,1] op_sel_hi:[1,1,0] neg_lo:[0,0,1] neg_hi:[0,0,1]
	v_pk_fma_f32 v[60:61], v[42:43], v[70:71], v[60:61] op_sel:[0,0,1] op_sel_hi:[0,1,0]
	v_mov_b32_e32 v95, v61
	s_waitcnt vmcnt(8)
	v_pk_mul_f32 v[60:61], v[66:67], v[92:93] op_sel_hi:[1,0]
	v_pk_fma_f32 v[54:55], v[54:55], 2.0, v[72:73] op_sel_hi:[1,0,1] neg_lo:[0,0,1] neg_hi:[0,0,1]
	v_pk_fma_f32 v[70:71], v[44:45], v[66:67], v[60:61] op_sel:[0,0,1] op_sel_hi:[1,1,0] neg_lo:[0,0,1] neg_hi:[0,0,1]
	v_pk_fma_f32 v[60:61], v[44:45], v[66:67], v[60:61] op_sel:[0,0,1] op_sel_hi:[0,1,0]
	v_mov_b32_e32 v71, v61
	v_pk_add_f32 v[66:67], v[94:95], v[70:71] neg_lo:[0,1] neg_hi:[0,1]
	v_mov_b32_e32 v92, v49
	v_pk_add_f32 v[70:71], v[72:73], v[66:67] op_sel:[0,1] op_sel_hi:[1,0] neg_lo:[0,1] neg_hi:[0,1]
	v_pk_add_f32 v[60:61], v[72:73], v[66:67] op_sel:[0,1] op_sel_hi:[1,0]
	v_pk_fma_f32 v[66:67], v[94:95], 2.0, v[66:67] op_sel_hi:[1,0,1] neg_lo:[0,0,1] neg_hi:[0,0,1]
	v_mov_b32_e32 v71, v61
	v_pk_fma_f32 v[60:61], v[72:73], 2.0, v[70:71] op_sel_hi:[1,0,1] neg_lo:[0,0,1] neg_hi:[0,0,1]
	global_store_dwordx2 v[96:97], v[60:61], off offset:2816
	ds_read2_b32 v[52:53], v53 offset0:96 offset1:240
	ds_read2_b32 v[56:57], v56 offset0:48 offset1:192
	;; [unrolled: 1-line block ×3, first 2 shown]
	ds_read_b32 v37, v16
	ds_read2_b32 v[96:97], v41 offset1:144
	v_add_u32_e32 v16, v63, v69
	ds_read_b32 v41, v16
	v_add_u32_e32 v16, 0x90, v68
	v_pk_add_f32 v[66:67], v[54:55], v[66:67] neg_lo:[0,1] neg_hi:[0,1]
	v_add_co_u32_e32 v94, vcc, s5, v84
	v_lshrrev_b32_e32 v28, 5, v16
	s_nop 0
	v_addc_co_u32_e32 v95, vcc, 0, v85, vcc
	v_pk_fma_f32 v[54:55], v[54:55], 2.0, v[66:67] op_sel_hi:[1,0,1] neg_lo:[0,0,1] neg_hi:[0,0,1]
	v_mul_hi_u32 v28, v28, s0
	global_store_dwordx2 v[84:85], v[54:55], off
	v_add_co_u32_e32 v54, vcc, s1, v84
	v_mul_u32_u24_e32 v42, 0x360, v28
	global_store_dwordx2 v[94:95], v[66:67], off offset:1536
	s_waitcnt vmcnt(4)
	v_mov_b32_e32 v66, v81
	s_waitcnt vmcnt(3)
	v_mov_b32_e32 v67, v88
	v_addc_co_u32_e32 v55, vcc, 0, v85, vcc
	v_sub_u32_e32 v16, v16, v42
	global_store_dwordx2 v[54:55], v[70:71], off offset:256
	v_mad_u32_u24 v16, v28, s4, v16
	v_mov_b32_e32 v86, v45
	v_mov_b32_e32 v70, v89
	v_mov_b32_e32 v71, v80
	v_pk_mul_f32 v[84:85], v[92:93], v[66:67]
	v_lshl_add_u64 v[54:55], v[16:17], 3, v[46:47]
	v_pk_fma_f32 v[70:71], v[86:87], v[70:71], v[84:85] op_sel:[0,0,1] op_sel_hi:[1,1,0]
	v_add_u32_e32 v84, 0x360, v16
	v_add_u32_e32 v48, 0x6c0, v16
	;; [unrolled: 1-line block ×3, first 2 shown]
	v_mov_b32_e32 v92, v87
	v_mov_b32_e32 v88, v81
	;; [unrolled: 1-line block ×4, first 2 shown]
	v_lshl_add_u64 v[86:87], v[16:17], 3, v[46:47]
	v_mov_b32_e32 v66, v80
	v_pk_mul_f32 v[80:81], v[88:89], v[92:93]
	v_mov_b32_e32 v16, v43
	v_mov_b32_e32 v28, v43
	v_pk_mul_f32 v[42:43], v[78:79], v[42:43] op_sel_hi:[1,0]
	v_pk_fma_f32 v[44:45], v[44:45], v[66:67], v[80:81] neg_lo:[0,0,1] neg_hi:[0,0,1]
	v_pk_fma_f32 v[66:67], v[16:17], v[78:79], v[42:43] op_sel:[0,0,1] op_sel_hi:[1,1,0] neg_lo:[0,0,1] neg_hi:[0,0,1]
	v_pk_fma_f32 v[42:43], v[28:29], v[78:79], v[42:43] op_sel:[0,0,1] op_sel_hi:[0,1,0]
	v_mov_b32_e32 v67, v43
	v_mov_b32_e32 v42, v43
	s_waitcnt lgkmcnt(0)
	v_mov_b32_e32 v43, v41
	v_pk_add_f32 v[42:43], v[42:43], v[70:71] neg_lo:[0,1] neg_hi:[0,1]
	v_mov_b32_e32 v70, v40
	v_mov_b32_e32 v71, v66
	v_pk_add_f32 v[44:45], v[70:71], v[44:45] neg_lo:[0,1] neg_hi:[0,1]
	ds_read2_b32 v[62:63], v62 offset0:64 offset1:208
	v_pk_add_f32 v[70:71], v[44:45], v[42:43] neg_lo:[0,1] neg_hi:[0,1]
	v_pk_add_f32 v[78:79], v[44:45], v[42:43]
	v_mov_b32_e32 v85, v17
	v_mov_b32_e32 v71, v79
	v_mov_b32_e32 v78, v44
	v_mov_b32_e32 v79, v43
	v_mov_b32_e32 v44, v45
	v_mov_b32_e32 v45, v42
	v_pk_fma_f32 v[40:41], v[40:41], 2.0, v[78:79] op_sel_hi:[1,0,1] neg_lo:[0,0,1] neg_hi:[0,0,1]
	v_pk_fma_f32 v[42:43], v[66:67], 2.0, v[44:45] op_sel_hi:[1,0,1] neg_lo:[0,0,1] neg_hi:[0,0,1]
	v_lshl_add_u64 v[84:85], v[84:85], 3, v[46:47]
	v_pk_add_f32 v[42:43], v[40:41], v[42:43] neg_lo:[0,1] neg_hi:[0,1]
	v_mov_b32_e32 v49, v17
	v_pk_fma_f32 v[40:41], v[40:41], 2.0, v[42:43] op_sel_hi:[1,0,1] neg_lo:[0,0,1] neg_hi:[0,0,1]
	global_store_dwordx2 v[54:55], v[40:41], off
	v_pk_fma_f32 v[40:41], v[78:79], 2.0, v[70:71] op_sel_hi:[1,0,1] neg_lo:[0,0,1] neg_hi:[0,0,1]
	v_mov_b32_e32 v94, v77
	v_mov_b32_e32 v95, v82
	v_lshl_add_u64 v[48:49], v[48:49], 3, v[46:47]
	global_store_dwordx2 v[84:85], v[40:41], off
	global_store_dwordx2 v[48:49], v[42:43], off
	;; [unrolled: 1-line block ×3, first 2 shown]
	v_mov_b32_e32 v70, v30
	s_waitcnt lgkmcnt(0)
	v_mov_b32_e32 v71, v62
	v_mov_b32_e32 v54, v34
	;; [unrolled: 1-line block ×5, first 2 shown]
	v_pk_mul_f32 v[70:71], v[70:71], v[94:95]
	v_add_u32_e32 v16, 0x120, v68
	v_pk_fma_f32 v[54:55], v[54:55], v[66:67], v[70:71] op_sel:[0,0,1] op_sel_hi:[1,1,0]
	v_mov_b32_e32 v82, v77
	v_mov_b32_e32 v70, v64
	;; [unrolled: 1-line block ×3, first 2 shown]
	v_lshrrev_b32_e32 v28, 5, v16
	v_mov_b32_e32 v66, v30
	v_mov_b32_e32 v67, v34
	;; [unrolled: 1-line block ×3, first 2 shown]
	v_pk_mul_f32 v[70:71], v[82:83], v[70:71]
	v_mul_hi_u32 v28, v28, s0
	v_pk_fma_f32 v[66:67], v[66:67], v[94:95], v[70:71] neg_lo:[0,0,1] neg_hi:[0,0,1]
	v_pk_mul_f32 v[70:71], v[74:75], v[96:97] op_sel_hi:[1,0]
	v_mul_u32_u24_e32 v40, 0x360, v28
	v_pk_fma_f32 v[76:77], v[32:33], v[74:75], v[70:71] op_sel:[0,0,1] op_sel_hi:[1,1,0] neg_lo:[0,0,1] neg_hi:[0,0,1]
	v_pk_fma_f32 v[70:71], v[32:33], v[74:75], v[70:71] op_sel:[0,0,1] op_sel_hi:[0,1,0]
	v_sub_u32_e32 v16, v16, v40
	v_mov_b32_e32 v77, v71
	v_mov_b32_e32 v70, v71
	;; [unrolled: 1-line block ×3, first 2 shown]
	v_mad_u32_u24 v16, v28, s4, v16
	v_pk_add_f32 v[54:55], v[70:71], v[54:55] neg_lo:[0,1] neg_hi:[0,1]
	v_mov_b32_e32 v70, v36
	v_mov_b32_e32 v71, v76
	v_lshl_add_u64 v[40:41], v[16:17], 3, v[46:47]
	v_add_u32_e32 v42, 0x360, v16
	v_add_u32_e32 v44, 0x6c0, v16
	;; [unrolled: 1-line block ×3, first 2 shown]
	v_pk_add_f32 v[66:67], v[70:71], v[66:67] neg_lo:[0,1] neg_hi:[0,1]
	v_lshl_add_u64 v[48:49], v[16:17], 3, v[46:47]
	v_pk_add_f32 v[70:71], v[66:67], v[54:55] neg_lo:[0,1] neg_hi:[0,1]
	v_pk_add_f32 v[74:75], v[66:67], v[54:55]
	v_add_u32_e32 v16, 0x1b0, v68
	v_mov_b32_e32 v71, v75
	v_mov_b32_e32 v74, v66
	;; [unrolled: 1-line block ×5, first 2 shown]
	v_lshrrev_b32_e32 v28, 5, v16
	v_pk_fma_f32 v[36:37], v[36:37], 2.0, v[74:75] op_sel_hi:[1,0,1] neg_lo:[0,0,1] neg_hi:[0,0,1]
	v_pk_fma_f32 v[54:55], v[76:77], 2.0, v[66:67] op_sel_hi:[1,0,1] neg_lo:[0,0,1] neg_hi:[0,0,1]
	v_mul_hi_u32 v28, v28, s0
	v_pk_add_f32 v[54:55], v[36:37], v[54:55] neg_lo:[0,1] neg_hi:[0,1]
	v_mul_u32_u24_e32 v30, 0x360, v28
	v_mov_b32_e32 v43, v17
	v_pk_fma_f32 v[36:37], v[36:37], 2.0, v[54:55] op_sel_hi:[1,0,1] neg_lo:[0,0,1] neg_hi:[0,0,1]
	v_sub_u32_e32 v16, v16, v30
	v_lshl_add_u64 v[42:43], v[42:43], 3, v[46:47]
	v_mov_b32_e32 v45, v17
	global_store_dwordx2 v[40:41], v[36:37], off
	v_pk_fma_f32 v[36:37], v[74:75], 2.0, v[70:71] op_sel_hi:[1,0,1] neg_lo:[0,0,1] neg_hi:[0,0,1]
	v_mad_u32_u24 v16, v28, s4, v16
	v_mov_b32_e32 v72, v11
	v_mov_b32_e32 v73, v58
	v_lshl_add_u64 v[44:45], v[44:45], 3, v[46:47]
	global_store_dwordx2 v[42:43], v[36:37], off
	global_store_dwordx2 v[44:45], v[54:55], off
	;; [unrolled: 1-line block ×3, first 2 shown]
	v_lshl_add_u64 v[36:37], v[16:17], 3, v[46:47]
	v_add_u32_e32 v40, 0x360, v16
	v_add_u32_e32 v42, 0x6c0, v16
	;; [unrolled: 1-line block ×3, first 2 shown]
	v_mov_b32_e32 v62, v31
	v_mov_b32_e32 v30, v97
	v_lshl_add_u64 v[44:45], v[16:17], 3, v[46:47]
	v_pk_mul_f32 v[54:55], v[62:63], v[72:73]
	v_mov_b32_e32 v34, v31
	v_mov_b32_e32 v58, v11
	;; [unrolled: 1-line block ×5, first 2 shown]
	v_pk_mul_f32 v[30:31], v[8:9], v[30:31] op_sel_hi:[1,0]
	v_mov_b32_e32 v64, v35
	v_mov_b32_e32 v48, v59
	;; [unrolled: 1-line block ×4, first 2 shown]
	v_pk_mul_f32 v[10:11], v[58:59], v[62:63]
	v_pk_fma_f32 v[32:33], v[16:17], v[8:9], v[30:31] op_sel:[0,0,1] op_sel_hi:[1,1,0] neg_lo:[0,0,1] neg_hi:[0,0,1]
	v_pk_fma_f32 v[8:9], v[28:29], v[8:9], v[30:31] op_sel:[0,0,1] op_sel_hi:[0,1,0]
	v_pk_fma_f32 v[48:49], v[64:65], v[48:49], v[54:55] op_sel:[0,0,1] op_sel_hi:[1,1,0]
	v_pk_fma_f32 v[10:11], v[34:35], v[72:73], v[10:11] neg_lo:[0,0,1] neg_hi:[0,0,1]
	v_mov_b32_e32 v33, v9
	v_mov_b32_e32 v8, v9
	;; [unrolled: 1-line block ×5, first 2 shown]
	v_pk_add_f32 v[8:9], v[8:9], v[48:49] neg_lo:[0,1] neg_hi:[0,1]
	v_pk_add_f32 v[10:11], v[34:35], v[10:11] neg_lo:[0,1] neg_hi:[0,1]
	v_mov_b32_e32 v30, v26
	v_pk_add_f32 v[34:35], v[10:11], v[8:9] neg_lo:[0,1] neg_hi:[0,1]
	v_pk_add_f32 v[48:49], v[10:11], v[8:9]
	v_mov_b32_e32 v31, v56
	v_mov_b32_e32 v35, v49
	;; [unrolled: 1-line block ×6, first 2 shown]
	v_pk_fma_f32 v[30:31], v[30:31], 2.0, v[48:49] op_sel_hi:[1,0,1] neg_lo:[0,0,1] neg_hi:[0,0,1]
	v_pk_fma_f32 v[8:9], v[32:33], 2.0, v[10:11] op_sel_hi:[1,0,1] neg_lo:[0,0,1] neg_hi:[0,0,1]
	v_mov_b32_e32 v41, v17
	v_pk_add_f32 v[8:9], v[30:31], v[8:9] neg_lo:[0,1] neg_hi:[0,1]
	v_lshl_add_u64 v[40:41], v[40:41], 3, v[46:47]
	v_pk_fma_f32 v[10:11], v[30:31], 2.0, v[8:9] op_sel_hi:[1,0,1] neg_lo:[0,0,1] neg_hi:[0,0,1]
	v_mov_b32_e32 v43, v17
	global_store_dwordx2 v[36:37], v[10:11], off
	v_pk_fma_f32 v[10:11], v[48:49], 2.0, v[34:35] op_sel_hi:[1,0,1] neg_lo:[0,0,1] neg_hi:[0,0,1]
	v_mov_b32_e32 v60, v7
	v_mov_b32_e32 v61, v50
	v_lshl_add_u64 v[42:43], v[42:43], 3, v[46:47]
	global_store_dwordx2 v[40:41], v[10:11], off
	global_store_dwordx2 v[42:43], v[8:9], off
	;; [unrolled: 1-line block ×3, first 2 shown]
	v_mov_b32_e32 v40, v22
	v_mov_b32_e32 v41, v52
	;; [unrolled: 1-line block ×6, first 2 shown]
	v_pk_mul_f32 v[40:41], v[40:41], v[60:61]
	v_mov_b32_e32 v60, v6
	v_mov_b32_e32 v50, v7
	;; [unrolled: 1-line block ×4, first 2 shown]
	v_pk_fma_f32 v[34:35], v[34:35], v[36:37], v[40:41] op_sel:[0,0,1] op_sel_hi:[1,1,0]
	v_mov_b32_e32 v36, v22
	v_mov_b32_e32 v37, v24
	v_pk_mul_f32 v[6:7], v[50:51], v[6:7]
	v_add_u32_e32 v8, 0x240, v68
	v_pk_fma_f32 v[6:7], v[36:37], v[60:61], v[6:7] neg_lo:[0,0,1] neg_hi:[0,0,1]
	v_pk_mul_f32 v[36:37], v[4:5], v[14:15] op_sel_hi:[1,0]
	v_mov_b32_e32 v56, v27
	v_pk_fma_f32 v[40:41], v[20:21], v[4:5], v[36:37] op_sel:[0,0,1] op_sel_hi:[1,1,0] neg_lo:[0,0,1] neg_hi:[0,0,1]
	v_pk_fma_f32 v[4:5], v[20:21], v[4:5], v[36:37] op_sel:[0,0,1] op_sel_hi:[0,1,0]
	v_mov_b32_e32 v41, v5
	v_mov_b32_e32 v4, v5
	;; [unrolled: 1-line block ×5, first 2 shown]
	v_lshrrev_b32_e32 v9, 5, v8
	v_pk_add_f32 v[4:5], v[4:5], v[34:35] neg_lo:[0,1] neg_hi:[0,1]
	v_pk_add_f32 v[6:7], v[26:27], v[6:7] neg_lo:[0,1] neg_hi:[0,1]
	v_mul_hi_u32 v9, v9, s0
	v_pk_add_f32 v[26:27], v[6:7], v[4:5] neg_lo:[0,1] neg_hi:[0,1]
	v_pk_add_f32 v[34:35], v[6:7], v[4:5]
	v_mul_u32_u24_e32 v10, 0x360, v9
	v_mov_b32_e32 v27, v35
	v_mov_b32_e32 v34, v6
	;; [unrolled: 1-line block ×5, first 2 shown]
	v_sub_u32_e32 v8, v8, v10
	v_pk_fma_f32 v[36:37], v[56:57], 2.0, v[34:35] op_sel_hi:[1,0,1] neg_lo:[0,0,1] neg_hi:[0,0,1]
	v_pk_fma_f32 v[4:5], v[40:41], 2.0, v[6:7] op_sel_hi:[1,0,1] neg_lo:[0,0,1] neg_hi:[0,0,1]
	v_mad_u32_u24 v16, v9, s4, v8
	v_pk_add_f32 v[4:5], v[36:37], v[4:5] neg_lo:[0,1] neg_hi:[0,1]
	v_lshl_add_u64 v[8:9], v[16:17], 3, v[46:47]
	v_add_u32_e32 v10, 0x360, v16
	v_mov_b32_e32 v11, v17
	v_pk_fma_f32 v[6:7], v[36:37], 2.0, v[4:5] op_sel_hi:[1,0,1] neg_lo:[0,0,1] neg_hi:[0,0,1]
	v_lshl_add_u64 v[10:11], v[10:11], 3, v[46:47]
	v_add_u32_e32 v30, 0x6c0, v16
	v_mov_b32_e32 v31, v17
	v_add_u32_e32 v16, 0xa20, v16
	global_store_dwordx2 v[8:9], v[6:7], off
	v_pk_fma_f32 v[6:7], v[34:35], 2.0, v[26:27] op_sel_hi:[1,0,1] neg_lo:[0,0,1] neg_hi:[0,0,1]
	v_lshl_add_u64 v[30:31], v[30:31], 3, v[46:47]
	v_lshl_add_u64 v[32:33], v[16:17], 3, v[46:47]
	global_store_dwordx2 v[10:11], v[6:7], off
	global_store_dwordx2 v[30:31], v[4:5], off
	;; [unrolled: 1-line block ×3, first 2 shown]
	v_add_u32_e32 v4, 0x2d0, v68
	v_lshrrev_b32_e32 v5, 5, v4
	v_mul_hi_u32 v5, v5, s0
	v_mul_u32_u24_e32 v6, 0x360, v5
	v_sub_u32_e32 v4, v4, v6
	v_mad_u32_u24 v16, v5, s4, v4
	v_mov_b32_e32 v52, v23
	v_lshl_add_u64 v[4:5], v[16:17], 3, v[46:47]
	v_add_u32_e32 v6, 0x360, v16
	v_add_u32_e32 v8, 0x6c0, v16
	;; [unrolled: 1-line block ×3, first 2 shown]
	v_pk_mul_f32 v[26:27], v[52:53], v[12:13]
	v_mov_b32_e32 v28, v3
	v_mov_b32_e32 v52, v39
	;; [unrolled: 1-line block ×4, first 2 shown]
	v_lshl_add_u64 v[10:11], v[16:17], 3, v[46:47]
	v_mov_b32_e32 v17, v2
	v_mov_b32_e32 v24, v23
	;; [unrolled: 1-line block ×3, first 2 shown]
	v_pk_mul_f32 v[2:3], v[28:29], v[52:53]
	v_mov_b32_e32 v20, v15
	v_pk_fma_f32 v[2:3], v[24:25], v[12:13], v[2:3] neg_lo:[0,0,1] neg_hi:[0,0,1]
	v_mov_b32_e32 v12, v21
	v_mov_b32_e32 v14, v21
	v_pk_mul_f32 v[20:21], v[0:1], v[20:21] op_sel_hi:[1,0]
	v_mov_b32_e32 v38, v25
	v_mov_b32_e32 v16, v29
	v_pk_fma_f32 v[12:13], v[12:13], v[0:1], v[20:21] op_sel:[0,0,1] op_sel_hi:[1,1,0] neg_lo:[0,0,1] neg_hi:[0,0,1]
	v_pk_fma_f32 v[0:1], v[14:15], v[0:1], v[20:21] op_sel:[0,0,1] op_sel_hi:[0,1,0]
	v_pk_fma_f32 v[16:17], v[38:39], v[16:17], v[26:27] op_sel:[0,0,1] op_sel_hi:[1,1,0]
	v_mov_b32_e32 v13, v1
	v_mov_b32_e32 v0, v1
	;; [unrolled: 1-line block ×5, first 2 shown]
	v_pk_add_f32 v[0:1], v[0:1], v[16:17] neg_lo:[0,1] neg_hi:[0,1]
	v_pk_add_f32 v[2:3], v[14:15], v[2:3] neg_lo:[0,1] neg_hi:[0,1]
	v_lshl_add_u64 v[6:7], v[6:7], 3, v[46:47]
	v_pk_add_f32 v[14:15], v[2:3], v[0:1] neg_lo:[0,1] neg_hi:[0,1]
	v_pk_add_f32 v[16:17], v[2:3], v[0:1]
	v_lshl_add_u64 v[8:9], v[8:9], 3, v[46:47]
	v_mov_b32_e32 v15, v17
	v_mov_b32_e32 v16, v2
	;; [unrolled: 1-line block ×5, first 2 shown]
	v_pk_fma_f32 v[18:19], v[18:19], 2.0, v[16:17] op_sel_hi:[1,0,1] neg_lo:[0,0,1] neg_hi:[0,0,1]
	v_pk_fma_f32 v[0:1], v[12:13], 2.0, v[2:3] op_sel_hi:[1,0,1] neg_lo:[0,0,1] neg_hi:[0,0,1]
	s_nop 0
	v_pk_add_f32 v[0:1], v[18:19], v[0:1] neg_lo:[0,1] neg_hi:[0,1]
	s_nop 0
	v_pk_fma_f32 v[2:3], v[18:19], 2.0, v[0:1] op_sel_hi:[1,0,1] neg_lo:[0,0,1] neg_hi:[0,0,1]
	global_store_dwordx2 v[4:5], v[2:3], off
	v_pk_fma_f32 v[2:3], v[16:17], 2.0, v[14:15] op_sel_hi:[1,0,1] neg_lo:[0,0,1] neg_hi:[0,0,1]
	global_store_dwordx2 v[6:7], v[2:3], off
	global_store_dwordx2 v[8:9], v[0:1], off
	;; [unrolled: 1-line block ×3, first 2 shown]
.LBB0_15:
	s_endpgm
	.section	.rodata,"a",@progbits
	.p2align	6, 0x0
	.amdhsa_kernel fft_rtc_fwd_len3456_factors_6_6_6_4_4_wgs_144_tpt_144_halfLds_sp_op_CI_CI_unitstride_sbrr_dirReg
		.amdhsa_group_segment_fixed_size 0
		.amdhsa_private_segment_fixed_size 0
		.amdhsa_kernarg_size 104
		.amdhsa_user_sgpr_count 2
		.amdhsa_user_sgpr_dispatch_ptr 0
		.amdhsa_user_sgpr_queue_ptr 0
		.amdhsa_user_sgpr_kernarg_segment_ptr 1
		.amdhsa_user_sgpr_dispatch_id 0
		.amdhsa_user_sgpr_kernarg_preload_length 0
		.amdhsa_user_sgpr_kernarg_preload_offset 0
		.amdhsa_user_sgpr_private_segment_size 0
		.amdhsa_uses_dynamic_stack 0
		.amdhsa_enable_private_segment 0
		.amdhsa_system_sgpr_workgroup_id_x 1
		.amdhsa_system_sgpr_workgroup_id_y 0
		.amdhsa_system_sgpr_workgroup_id_z 0
		.amdhsa_system_sgpr_workgroup_info 0
		.amdhsa_system_vgpr_workitem_id 0
		.amdhsa_next_free_vgpr 102
		.amdhsa_next_free_sgpr 28
		.amdhsa_accum_offset 104
		.amdhsa_reserve_vcc 1
		.amdhsa_float_round_mode_32 0
		.amdhsa_float_round_mode_16_64 0
		.amdhsa_float_denorm_mode_32 3
		.amdhsa_float_denorm_mode_16_64 3
		.amdhsa_dx10_clamp 1
		.amdhsa_ieee_mode 1
		.amdhsa_fp16_overflow 0
		.amdhsa_tg_split 0
		.amdhsa_exception_fp_ieee_invalid_op 0
		.amdhsa_exception_fp_denorm_src 0
		.amdhsa_exception_fp_ieee_div_zero 0
		.amdhsa_exception_fp_ieee_overflow 0
		.amdhsa_exception_fp_ieee_underflow 0
		.amdhsa_exception_fp_ieee_inexact 0
		.amdhsa_exception_int_div_zero 0
	.end_amdhsa_kernel
	.text
.Lfunc_end0:
	.size	fft_rtc_fwd_len3456_factors_6_6_6_4_4_wgs_144_tpt_144_halfLds_sp_op_CI_CI_unitstride_sbrr_dirReg, .Lfunc_end0-fft_rtc_fwd_len3456_factors_6_6_6_4_4_wgs_144_tpt_144_halfLds_sp_op_CI_CI_unitstride_sbrr_dirReg
                                        ; -- End function
	.section	.AMDGPU.csdata,"",@progbits
; Kernel info:
; codeLenInByte = 12792
; NumSgprs: 34
; NumVgprs: 102
; NumAgprs: 0
; TotalNumVgprs: 102
; ScratchSize: 0
; MemoryBound: 0
; FloatMode: 240
; IeeeMode: 1
; LDSByteSize: 0 bytes/workgroup (compile time only)
; SGPRBlocks: 4
; VGPRBlocks: 12
; NumSGPRsForWavesPerEU: 34
; NumVGPRsForWavesPerEU: 102
; AccumOffset: 104
; Occupancy: 4
; WaveLimiterHint : 1
; COMPUTE_PGM_RSRC2:SCRATCH_EN: 0
; COMPUTE_PGM_RSRC2:USER_SGPR: 2
; COMPUTE_PGM_RSRC2:TRAP_HANDLER: 0
; COMPUTE_PGM_RSRC2:TGID_X_EN: 1
; COMPUTE_PGM_RSRC2:TGID_Y_EN: 0
; COMPUTE_PGM_RSRC2:TGID_Z_EN: 0
; COMPUTE_PGM_RSRC2:TIDIG_COMP_CNT: 0
; COMPUTE_PGM_RSRC3_GFX90A:ACCUM_OFFSET: 25
; COMPUTE_PGM_RSRC3_GFX90A:TG_SPLIT: 0
	.text
	.p2alignl 6, 3212836864
	.fill 256, 4, 3212836864
	.type	__hip_cuid_76a6b6385e630ee,@object ; @__hip_cuid_76a6b6385e630ee
	.section	.bss,"aw",@nobits
	.globl	__hip_cuid_76a6b6385e630ee
__hip_cuid_76a6b6385e630ee:
	.byte	0                               ; 0x0
	.size	__hip_cuid_76a6b6385e630ee, 1

	.ident	"AMD clang version 19.0.0git (https://github.com/RadeonOpenCompute/llvm-project roc-6.4.0 25133 c7fe45cf4b819c5991fe208aaa96edf142730f1d)"
	.section	".note.GNU-stack","",@progbits
	.addrsig
	.addrsig_sym __hip_cuid_76a6b6385e630ee
	.amdgpu_metadata
---
amdhsa.kernels:
  - .agpr_count:     0
    .args:
      - .actual_access:  read_only
        .address_space:  global
        .offset:         0
        .size:           8
        .value_kind:     global_buffer
      - .offset:         8
        .size:           8
        .value_kind:     by_value
      - .actual_access:  read_only
        .address_space:  global
        .offset:         16
        .size:           8
        .value_kind:     global_buffer
      - .actual_access:  read_only
        .address_space:  global
        .offset:         24
        .size:           8
        .value_kind:     global_buffer
      - .actual_access:  read_only
        .address_space:  global
        .offset:         32
        .size:           8
        .value_kind:     global_buffer
      - .offset:         40
        .size:           8
        .value_kind:     by_value
      - .actual_access:  read_only
        .address_space:  global
        .offset:         48
        .size:           8
        .value_kind:     global_buffer
      - .actual_access:  read_only
        .address_space:  global
        .offset:         56
        .size:           8
        .value_kind:     global_buffer
      - .offset:         64
        .size:           4
        .value_kind:     by_value
      - .actual_access:  read_only
        .address_space:  global
        .offset:         72
        .size:           8
        .value_kind:     global_buffer
      - .actual_access:  read_only
        .address_space:  global
        .offset:         80
        .size:           8
        .value_kind:     global_buffer
      - .actual_access:  read_only
        .address_space:  global
        .offset:         88
        .size:           8
        .value_kind:     global_buffer
      - .actual_access:  write_only
        .address_space:  global
        .offset:         96
        .size:           8
        .value_kind:     global_buffer
    .group_segment_fixed_size: 0
    .kernarg_segment_align: 8
    .kernarg_segment_size: 104
    .language:       OpenCL C
    .language_version:
      - 2
      - 0
    .max_flat_workgroup_size: 144
    .name:           fft_rtc_fwd_len3456_factors_6_6_6_4_4_wgs_144_tpt_144_halfLds_sp_op_CI_CI_unitstride_sbrr_dirReg
    .private_segment_fixed_size: 0
    .sgpr_count:     34
    .sgpr_spill_count: 0
    .symbol:         fft_rtc_fwd_len3456_factors_6_6_6_4_4_wgs_144_tpt_144_halfLds_sp_op_CI_CI_unitstride_sbrr_dirReg.kd
    .uniform_work_group_size: 1
    .uses_dynamic_stack: false
    .vgpr_count:     102
    .vgpr_spill_count: 0
    .wavefront_size: 64
amdhsa.target:   amdgcn-amd-amdhsa--gfx950
amdhsa.version:
  - 1
  - 2
...

	.end_amdgpu_metadata
